;; amdgpu-corpus repo=pytorch/pytorch kind=compiled arch=gfx90a opt=O3
	.text
	.amdgcn_target "amdgcn-amd-amdhsa--gfx90a"
	.amdhsa_code_object_version 6
	.section	.text._ZN2at6native12_GLOBAL__N_132weight_norm_fwd_first_dim_kernelIddEEvPT_PT0_PKS3_S8_i,"axG",@progbits,_ZN2at6native12_GLOBAL__N_132weight_norm_fwd_first_dim_kernelIddEEvPT_PT0_PKS3_S8_i,comdat
	.globl	_ZN2at6native12_GLOBAL__N_132weight_norm_fwd_first_dim_kernelIddEEvPT_PT0_PKS3_S8_i ; -- Begin function _ZN2at6native12_GLOBAL__N_132weight_norm_fwd_first_dim_kernelIddEEvPT_PT0_PKS3_S8_i
	.p2align	8
	.type	_ZN2at6native12_GLOBAL__N_132weight_norm_fwd_first_dim_kernelIddEEvPT_PT0_PKS3_S8_i,@function
_ZN2at6native12_GLOBAL__N_132weight_norm_fwd_first_dim_kernelIddEEvPT_PT0_PKS3_S8_i: ; @_ZN2at6native12_GLOBAL__N_132weight_norm_fwd_first_dim_kernelIddEEvPT_PT0_PKS3_S8_i
; %bb.0:
	s_load_dword s18, s[4:5], 0x20
	s_load_dword s0, s[4:5], 0x34
	s_load_dwordx8 s[8:15], s[4:5], 0x0
	v_and_b32_e32 v8, 0x3ff, v0
	s_add_u32 s2, s4, 40
	s_waitcnt lgkmcnt(0)
	s_mul_i32 s4, s6, s18
	v_add_u32_e32 v2, s4, v8
	s_addc_u32 s3, s5, 0
	s_and_b32 s19, s0, 0xffff
	v_cmp_gt_i32_e64 s[0:1], s18, v8
	v_pk_mov_b32 v[4:5], 0, 0
	v_ashrrev_i32_e32 v3, 31, v2
	s_and_saveexec_b64 s[4:5], s[0:1]
	s_cbranch_execz .LBB0_4
; %bb.1:
	v_lshlrev_b64 v[4:5], 3, v[2:3]
	v_mov_b32_e32 v1, s13
	v_add_co_u32_e32 v6, vcc, s12, v4
	s_mov_b32 s20, 0
	v_addc_co_u32_e32 v7, vcc, v1, v5, vcc
	s_lshl_b32 s7, s19, 3
	s_mov_b64 s[16:17], 0
	v_pk_mov_b32 v[4:5], 0, 0
	v_mov_b32_e32 v1, s20
	v_mov_b32_e32 v9, v8
.LBB0_2:                                ; =>This Inner Loop Header: Depth=1
	global_load_dwordx2 v[10:11], v[6:7], off
	v_add_co_u32_e32 v6, vcc, s7, v6
	v_add_u32_e32 v9, s19, v9
	v_addc_co_u32_e32 v7, vcc, v7, v1, vcc
	v_cmp_le_i32_e32 vcc, s18, v9
	s_or_b64 s[16:17], vcc, s[16:17]
	s_waitcnt vmcnt(0)
	v_fmac_f64_e32 v[4:5], v[10:11], v[10:11]
	s_andn2_b64 exec, exec, s[16:17]
	s_cbranch_execnz .LBB0_2
; %bb.3:
	s_or_b64 exec, exec, s[16:17]
.LBB0_4:
	s_or_b64 exec, exec, s[4:5]
	s_load_dword s2, s[2:3], 0xc
	v_bfe_u32 v0, v0, 10, 10
	v_mad_u32_u24 v6, v0, s19, v8
	s_waitcnt lgkmcnt(0)
	s_lshr_b32 s2, s2, 16
	s_mul_i32 s2, s2, s19
	s_cmp_gt_i32 s2, 63
	s_cselect_b64 s[4:5], -1, 0
	s_cmp_lt_i32 s2, 64
	s_cbranch_scc1 .LBB0_6
; %bb.5:
	v_lshl_add_u32 v0, v6, 3, 0
	ds_write_b64 v0, v[4:5]
	s_waitcnt lgkmcnt(0)
	s_barrier
.LBB0_6:
	s_ashr_i32 s7, s2, 1
	s_cmp_lt_i32 s7, 64
	s_cbranch_scc1 .LBB0_11
; %bb.7:
	v_lshl_add_u32 v0, v6, 3, 0
	s_branch .LBB0_9
.LBB0_8:                                ;   in Loop: Header=BB0_9 Depth=1
	s_or_b64 exec, exec, s[2:3]
	s_lshr_b32 s2, s7, 1
	s_cmpk_lt_u32 s7, 0x80
	s_mov_b32 s7, s2
	s_waitcnt lgkmcnt(0)
	s_barrier
	s_cbranch_scc1 .LBB0_11
.LBB0_9:                                ; =>This Inner Loop Header: Depth=1
	v_cmp_gt_i32_e32 vcc, s7, v6
	s_and_saveexec_b64 s[2:3], vcc
	s_cbranch_execz .LBB0_8
; %bb.10:                               ;   in Loop: Header=BB0_9 Depth=1
	v_lshl_add_u32 v1, s7, 3, v0
	ds_read_b64 v[10:11], v0
	ds_read_b64 v[12:13], v1
	s_waitcnt lgkmcnt(0)
	v_add_f64 v[10:11], v[10:11], v[12:13]
	ds_write_b64 v0, v[10:11]
	s_branch .LBB0_8
.LBB0_11:
	v_cmp_gt_u32_e32 vcc, 32, v6
	s_and_saveexec_b64 s[2:3], vcc
	s_cbranch_execz .LBB0_16
; %bb.12:
	s_andn2_b64 vcc, exec, s[4:5]
	s_cbranch_vccnz .LBB0_14
; %bb.13:
	v_lshl_add_u32 v0, v6, 3, 0
	ds_read2_b64 v[10:13], v0 offset1:32
	s_waitcnt lgkmcnt(0)
	v_add_f64 v[4:5], v[10:11], v[12:13]
.LBB0_14:
	v_mbcnt_lo_u32_b32 v0, -1, 0
	v_mbcnt_hi_u32_b32 v7, -1, v0
	v_and_b32_e32 v9, 63, v7
	v_cmp_gt_u32_e32 vcc, 48, v9
	v_cndmask_b32_e64 v0, 0, 1, vcc
	v_lshlrev_b32_e32 v0, 4, v0
	v_add_lshl_u32 v1, v0, v7, 2
	ds_bpermute_b32 v0, v1, v4
	ds_bpermute_b32 v1, v1, v5
	v_cmp_gt_u32_e32 vcc, 56, v9
	v_cndmask_b32_e64 v10, 0, 1, vcc
	v_cmp_gt_u32_e32 vcc, 60, v9
	s_waitcnt lgkmcnt(0)
	v_add_f64 v[0:1], v[4:5], v[0:1]
	v_lshlrev_b32_e32 v4, 3, v10
	v_add_lshl_u32 v5, v4, v7, 2
	ds_bpermute_b32 v4, v5, v0
	ds_bpermute_b32 v5, v5, v1
	s_waitcnt lgkmcnt(0)
	v_add_f64 v[0:1], v[0:1], v[4:5]
	v_cndmask_b32_e64 v4, 0, 1, vcc
	v_lshlrev_b32_e32 v4, 2, v4
	v_add_lshl_u32 v5, v4, v7, 2
	ds_bpermute_b32 v4, v5, v0
	ds_bpermute_b32 v5, v5, v1
	v_cmp_gt_u32_e32 vcc, 62, v9
	s_waitcnt lgkmcnt(0)
	v_add_f64 v[0:1], v[0:1], v[4:5]
	v_cndmask_b32_e64 v4, 0, 1, vcc
	v_lshlrev_b32_e32 v4, 1, v4
	v_add_lshl_u32 v5, v4, v7, 2
	ds_bpermute_b32 v4, v5, v0
	ds_bpermute_b32 v5, v5, v1
	v_cmp_ne_u32_e32 vcc, 63, v9
	s_waitcnt lgkmcnt(0)
	v_add_f64 v[0:1], v[0:1], v[4:5]
	v_addc_co_u32_e32 v4, vcc, 0, v7, vcc
	v_lshlrev_b32_e32 v5, 2, v4
	ds_bpermute_b32 v4, v5, v0
	ds_bpermute_b32 v5, v5, v1
	v_cmp_eq_u32_e32 vcc, 0, v6
	s_and_b64 exec, exec, vcc
	s_cbranch_execz .LBB0_16
; %bb.15:
	s_waitcnt lgkmcnt(0)
	v_add_f64 v[0:1], v[0:1], v[4:5]
	v_mov_b32_e32 v4, 0
	ds_write_b64 v4, v[0:1]
.LBB0_16:
	s_or_b64 exec, exec, s[2:3]
	s_waitcnt lgkmcnt(1)
	v_mov_b32_e32 v4, 0
	s_waitcnt lgkmcnt(0)
	s_barrier
	ds_read_b64 v[0:1], v4
	s_mov_b32 s2, 0xf800000
	s_ashr_i32 s7, s6, 31
	s_waitcnt lgkmcnt(0)
	v_cvt_f32_f64_e32 v0, v[0:1]
	v_mul_f32_e32 v1, 0x4f800000, v0
	v_cmp_gt_f32_e32 vcc, s2, v0
	v_cndmask_b32_e32 v0, v0, v1, vcc
	v_sqrt_f32_e32 v1, v0
	v_add_u32_e32 v5, -1, v1
	v_fma_f32 v7, -v5, v1, v0
	v_add_u32_e32 v6, 1, v1
	v_cmp_ge_f32_e64 s[2:3], 0, v7
	v_cndmask_b32_e64 v5, v1, v5, s[2:3]
	v_fma_f32 v1, -v6, v1, v0
	v_cmp_lt_f32_e64 s[2:3], 0, v1
	v_cndmask_b32_e64 v1, v5, v6, s[2:3]
	v_mul_f32_e32 v5, 0x37800000, v1
	v_cndmask_b32_e32 v1, v1, v5, vcc
	v_mov_b32_e32 v5, 0x260
	v_cmp_class_f32_e32 vcc, v0, v5
	v_cndmask_b32_e32 v0, v1, v0, vcc
	v_cvt_f64_f32_e32 v[0:1], v0
	v_cmp_eq_u32_e32 vcc, 0, v8
	s_and_saveexec_b64 s[2:3], vcc
	s_cbranch_execz .LBB0_18
; %bb.17:
	s_lshl_b64 s[4:5], s[6:7], 3
	s_add_u32 s4, s10, s4
	s_addc_u32 s5, s11, s5
	global_store_dwordx2 v4, v[0:1], s[4:5]
.LBB0_18:
	s_or_b64 exec, exec, s[2:3]
	s_and_saveexec_b64 s[2:3], s[0:1]
	s_cbranch_execz .LBB0_21
; %bb.19:
	v_div_scale_f64 v[4:5], s[2:3], v[0:1], v[0:1], 1.0
	v_rcp_f64_e32 v[6:7], v[4:5]
	s_lshl_b64 s[0:1], s[6:7], 3
	s_add_u32 s0, s14, s0
	s_addc_u32 s1, s15, s1
	v_fma_f64 v[10:11], -v[4:5], v[6:7], 1.0
	v_fmac_f64_e32 v[6:7], v[6:7], v[10:11]
	v_fma_f64 v[10:11], -v[4:5], v[6:7], 1.0
	s_load_dwordx2 s[0:1], s[0:1], 0x0
	v_fmac_f64_e32 v[6:7], v[6:7], v[10:11]
	v_div_scale_f64 v[10:11], vcc, 1.0, v[0:1], 1.0
	v_mul_f64 v[12:13], v[10:11], v[6:7]
	v_fma_f64 v[4:5], -v[4:5], v[12:13], v[10:11]
	s_mov_b32 s5, 0
	s_nop 0
	v_div_fmas_f64 v[4:5], v[4:5], v[6:7], v[12:13]
	v_div_fixup_f64 v[0:1], v[4:5], v[0:1], 1.0
	v_lshlrev_b64 v[2:3], 3, v[2:3]
	s_lshl_b32 s4, s19, 3
	s_mov_b64 s[2:3], 0
	v_mov_b32_e32 v4, s13
	v_mov_b32_e32 v5, s9
	;; [unrolled: 1-line block ×3, first 2 shown]
.LBB0_20:                               ; =>This Inner Loop Header: Depth=1
	v_add_co_u32_e32 v10, vcc, s12, v2
	v_addc_co_u32_e32 v11, vcc, v4, v3, vcc
	global_load_dwordx2 v[10:11], v[10:11], off
	v_add_co_u32_e32 v12, vcc, s8, v2
	v_addc_co_u32_e32 v13, vcc, v5, v3, vcc
	v_add_co_u32_e32 v2, vcc, s4, v2
	v_add_u32_e32 v8, s19, v8
	v_addc_co_u32_e32 v3, vcc, v3, v6, vcc
	v_cmp_le_i32_e32 vcc, s18, v8
	s_or_b64 s[2:3], vcc, s[2:3]
	s_waitcnt vmcnt(0) lgkmcnt(0)
	v_mul_f64 v[10:11], s[0:1], v[10:11]
	v_mul_f64 v[10:11], v[0:1], v[10:11]
	global_store_dwordx2 v[12:13], v[10:11], off
	s_andn2_b64 exec, exec, s[2:3]
	s_cbranch_execnz .LBB0_20
.LBB0_21:
	s_endpgm
	.section	.rodata,"a",@progbits
	.p2align	6, 0x0
	.amdhsa_kernel _ZN2at6native12_GLOBAL__N_132weight_norm_fwd_first_dim_kernelIddEEvPT_PT0_PKS3_S8_i
		.amdhsa_group_segment_fixed_size 0
		.amdhsa_private_segment_fixed_size 0
		.amdhsa_kernarg_size 296
		.amdhsa_user_sgpr_count 6
		.amdhsa_user_sgpr_private_segment_buffer 1
		.amdhsa_user_sgpr_dispatch_ptr 0
		.amdhsa_user_sgpr_queue_ptr 0
		.amdhsa_user_sgpr_kernarg_segment_ptr 1
		.amdhsa_user_sgpr_dispatch_id 0
		.amdhsa_user_sgpr_flat_scratch_init 0
		.amdhsa_user_sgpr_kernarg_preload_length 0
		.amdhsa_user_sgpr_kernarg_preload_offset 0
		.amdhsa_user_sgpr_private_segment_size 0
		.amdhsa_uses_dynamic_stack 0
		.amdhsa_system_sgpr_private_segment_wavefront_offset 0
		.amdhsa_system_sgpr_workgroup_id_x 1
		.amdhsa_system_sgpr_workgroup_id_y 0
		.amdhsa_system_sgpr_workgroup_id_z 0
		.amdhsa_system_sgpr_workgroup_info 0
		.amdhsa_system_vgpr_workitem_id 1
		.amdhsa_next_free_vgpr 14
		.amdhsa_next_free_sgpr 21
		.amdhsa_accum_offset 16
		.amdhsa_reserve_vcc 1
		.amdhsa_reserve_flat_scratch 0
		.amdhsa_float_round_mode_32 0
		.amdhsa_float_round_mode_16_64 0
		.amdhsa_float_denorm_mode_32 3
		.amdhsa_float_denorm_mode_16_64 3
		.amdhsa_dx10_clamp 1
		.amdhsa_ieee_mode 1
		.amdhsa_fp16_overflow 0
		.amdhsa_tg_split 0
		.amdhsa_exception_fp_ieee_invalid_op 0
		.amdhsa_exception_fp_denorm_src 0
		.amdhsa_exception_fp_ieee_div_zero 0
		.amdhsa_exception_fp_ieee_overflow 0
		.amdhsa_exception_fp_ieee_underflow 0
		.amdhsa_exception_fp_ieee_inexact 0
		.amdhsa_exception_int_div_zero 0
	.end_amdhsa_kernel
	.section	.text._ZN2at6native12_GLOBAL__N_132weight_norm_fwd_first_dim_kernelIddEEvPT_PT0_PKS3_S8_i,"axG",@progbits,_ZN2at6native12_GLOBAL__N_132weight_norm_fwd_first_dim_kernelIddEEvPT_PT0_PKS3_S8_i,comdat
.Lfunc_end0:
	.size	_ZN2at6native12_GLOBAL__N_132weight_norm_fwd_first_dim_kernelIddEEvPT_PT0_PKS3_S8_i, .Lfunc_end0-_ZN2at6native12_GLOBAL__N_132weight_norm_fwd_first_dim_kernelIddEEvPT_PT0_PKS3_S8_i
                                        ; -- End function
	.section	.AMDGPU.csdata,"",@progbits
; Kernel info:
; codeLenInByte = 1132
; NumSgprs: 25
; NumVgprs: 14
; NumAgprs: 0
; TotalNumVgprs: 14
; ScratchSize: 0
; MemoryBound: 0
; FloatMode: 240
; IeeeMode: 1
; LDSByteSize: 0 bytes/workgroup (compile time only)
; SGPRBlocks: 3
; VGPRBlocks: 1
; NumSGPRsForWavesPerEU: 25
; NumVGPRsForWavesPerEU: 14
; AccumOffset: 16
; Occupancy: 8
; WaveLimiterHint : 0
; COMPUTE_PGM_RSRC2:SCRATCH_EN: 0
; COMPUTE_PGM_RSRC2:USER_SGPR: 6
; COMPUTE_PGM_RSRC2:TRAP_HANDLER: 0
; COMPUTE_PGM_RSRC2:TGID_X_EN: 1
; COMPUTE_PGM_RSRC2:TGID_Y_EN: 0
; COMPUTE_PGM_RSRC2:TGID_Z_EN: 0
; COMPUTE_PGM_RSRC2:TIDIG_COMP_CNT: 1
; COMPUTE_PGM_RSRC3_GFX90A:ACCUM_OFFSET: 3
; COMPUTE_PGM_RSRC3_GFX90A:TG_SPLIT: 0
	.section	.text._ZN2at6native12_GLOBAL__N_132weight_norm_fwd_first_dim_kernelIffEEvPT_PT0_PKS3_S8_i,"axG",@progbits,_ZN2at6native12_GLOBAL__N_132weight_norm_fwd_first_dim_kernelIffEEvPT_PT0_PKS3_S8_i,comdat
	.globl	_ZN2at6native12_GLOBAL__N_132weight_norm_fwd_first_dim_kernelIffEEvPT_PT0_PKS3_S8_i ; -- Begin function _ZN2at6native12_GLOBAL__N_132weight_norm_fwd_first_dim_kernelIffEEvPT_PT0_PKS3_S8_i
	.p2align	8
	.type	_ZN2at6native12_GLOBAL__N_132weight_norm_fwd_first_dim_kernelIffEEvPT_PT0_PKS3_S8_i,@function
_ZN2at6native12_GLOBAL__N_132weight_norm_fwd_first_dim_kernelIffEEvPT_PT0_PKS3_S8_i: ; @_ZN2at6native12_GLOBAL__N_132weight_norm_fwd_first_dim_kernelIffEEvPT_PT0_PKS3_S8_i
; %bb.0:
	s_load_dword s18, s[4:5], 0x20
	s_load_dword s0, s[4:5], 0x34
	s_load_dwordx8 s[8:15], s[4:5], 0x0
	v_and_b32_e32 v4, 0x3ff, v0
	s_add_u32 s2, s4, 40
	s_addc_u32 s3, s5, 0
	s_waitcnt lgkmcnt(0)
	s_and_b32 s19, s0, 0xffff
	s_mul_i32 s20, s6, s18
	v_cmp_gt_i32_e64 s[0:1], s18, v4
	v_mov_b32_e32 v1, 0
	s_and_saveexec_b64 s[4:5], s[0:1]
	s_cbranch_execz .LBB1_4
; %bb.1:
	v_add_u32_e32 v2, s20, v4
	v_ashrrev_i32_e32 v3, 31, v2
	v_lshlrev_b64 v[2:3], 2, v[2:3]
	v_mov_b32_e32 v1, s13
	v_add_co_u32_e32 v2, vcc, s12, v2
	s_mov_b32 s21, 0
	v_addc_co_u32_e32 v3, vcc, v1, v3, vcc
	s_lshl_b32 s7, s19, 2
	s_mov_b64 s[16:17], 0
	v_mov_b32_e32 v1, 0
	v_mov_b32_e32 v5, s21
	;; [unrolled: 1-line block ×3, first 2 shown]
.LBB1_2:                                ; =>This Inner Loop Header: Depth=1
	global_load_dword v7, v[2:3], off
	v_add_co_u32_e32 v2, vcc, s7, v2
	v_add_u32_e32 v6, s19, v6
	v_addc_co_u32_e32 v3, vcc, v3, v5, vcc
	v_cmp_le_i32_e32 vcc, s18, v6
	s_or_b64 s[16:17], vcc, s[16:17]
	s_waitcnt vmcnt(0)
	v_fmac_f32_e32 v1, v7, v7
	s_andn2_b64 exec, exec, s[16:17]
	s_cbranch_execnz .LBB1_2
; %bb.3:
	s_or_b64 exec, exec, s[16:17]
.LBB1_4:
	s_or_b64 exec, exec, s[4:5]
	s_load_dword s2, s[2:3], 0xc
	v_bfe_u32 v0, v0, 10, 10
	v_mad_u32_u24 v0, v0, s19, v4
	s_waitcnt lgkmcnt(0)
	s_lshr_b32 s2, s2, 16
	s_mul_i32 s2, s2, s19
	s_cmp_gt_i32 s2, 63
	s_cselect_b64 s[4:5], -1, 0
	s_cmp_lt_i32 s2, 64
	s_cbranch_scc1 .LBB1_6
; %bb.5:
	v_lshl_add_u32 v2, v0, 2, 0
	ds_write_b32 v2, v1
	s_waitcnt lgkmcnt(0)
	s_barrier
.LBB1_6:
	s_ashr_i32 s7, s2, 1
	s_cmp_lt_i32 s7, 64
	s_cbranch_scc1 .LBB1_11
; %bb.7:
	v_lshl_add_u32 v2, v0, 2, 0
	s_branch .LBB1_9
.LBB1_8:                                ;   in Loop: Header=BB1_9 Depth=1
	s_or_b64 exec, exec, s[2:3]
	s_lshr_b32 s2, s7, 1
	s_cmpk_lt_u32 s7, 0x80
	s_mov_b32 s7, s2
	s_waitcnt lgkmcnt(0)
	s_barrier
	s_cbranch_scc1 .LBB1_11
.LBB1_9:                                ; =>This Inner Loop Header: Depth=1
	v_cmp_gt_i32_e32 vcc, s7, v0
	s_and_saveexec_b64 s[2:3], vcc
	s_cbranch_execz .LBB1_8
; %bb.10:                               ;   in Loop: Header=BB1_9 Depth=1
	v_lshl_add_u32 v3, s7, 2, v2
	ds_read_b32 v5, v2
	ds_read_b32 v3, v3
	s_waitcnt lgkmcnt(0)
	v_add_f32_e32 v3, v5, v3
	ds_write_b32 v2, v3
	s_branch .LBB1_8
.LBB1_11:
	v_cmp_gt_u32_e32 vcc, 32, v0
	s_and_saveexec_b64 s[2:3], vcc
	s_cbranch_execz .LBB1_16
; %bb.12:
	s_andn2_b64 vcc, exec, s[4:5]
	s_cbranch_vccnz .LBB1_14
; %bb.13:
	v_lshl_add_u32 v1, v0, 2, 0
	ds_read2_b32 v[2:3], v1 offset1:32
	s_waitcnt lgkmcnt(0)
	v_add_f32_e32 v1, v2, v3
.LBB1_14:
	v_mbcnt_lo_u32_b32 v2, -1, 0
	v_mbcnt_hi_u32_b32 v2, -1, v2
	v_and_b32_e32 v3, 63, v2
	v_cmp_gt_u32_e32 vcc, 48, v3
	v_cndmask_b32_e64 v5, 0, 1, vcc
	v_lshlrev_b32_e32 v5, 4, v5
	v_add_lshl_u32 v5, v5, v2, 2
	ds_bpermute_b32 v5, v5, v1
	v_cmp_gt_u32_e32 vcc, 56, v3
	v_cndmask_b32_e64 v6, 0, 1, vcc
	v_lshlrev_b32_e32 v6, 3, v6
	v_cmp_gt_u32_e32 vcc, 60, v3
	s_waitcnt lgkmcnt(0)
	v_add_f32_e32 v1, v1, v5
	v_add_lshl_u32 v5, v6, v2, 2
	ds_bpermute_b32 v5, v5, v1
	v_cndmask_b32_e64 v6, 0, 1, vcc
	v_lshlrev_b32_e32 v6, 2, v6
	v_cmp_gt_u32_e32 vcc, 62, v3
	s_waitcnt lgkmcnt(0)
	v_add_f32_e32 v1, v1, v5
	v_add_lshl_u32 v5, v6, v2, 2
	ds_bpermute_b32 v5, v5, v1
	v_cndmask_b32_e64 v6, 0, 1, vcc
	v_lshlrev_b32_e32 v6, 1, v6
	v_cmp_ne_u32_e32 vcc, 63, v3
	s_waitcnt lgkmcnt(0)
	v_add_f32_e32 v1, v1, v5
	v_add_lshl_u32 v5, v6, v2, 2
	ds_bpermute_b32 v5, v5, v1
	v_addc_co_u32_e32 v2, vcc, 0, v2, vcc
	v_lshlrev_b32_e32 v2, 2, v2
	v_cmp_eq_u32_e32 vcc, 0, v0
	s_waitcnt lgkmcnt(0)
	v_add_f32_e32 v1, v1, v5
	ds_bpermute_b32 v2, v2, v1
	s_and_b64 exec, exec, vcc
	s_cbranch_execz .LBB1_16
; %bb.15:
	s_waitcnt lgkmcnt(0)
	v_add_f32_e32 v0, v1, v2
	v_mov_b32_e32 v1, 0
	ds_write_b32 v1, v0
.LBB1_16:
	s_or_b64 exec, exec, s[2:3]
	v_mov_b32_e32 v1, 0
	s_waitcnt lgkmcnt(0)
	s_barrier
	ds_read_b32 v0, v1
	s_mov_b32 s2, 0xf800000
	s_ashr_i32 s7, s6, 31
	s_waitcnt lgkmcnt(0)
	v_mul_f32_e32 v2, 0x4f800000, v0
	v_cmp_gt_f32_e32 vcc, s2, v0
	v_cndmask_b32_e32 v0, v0, v2, vcc
	v_sqrt_f32_e32 v2, v0
	v_add_u32_e32 v3, -1, v2
	v_fma_f32 v6, -v3, v2, v0
	v_add_u32_e32 v5, 1, v2
	v_cmp_ge_f32_e64 s[2:3], 0, v6
	v_cndmask_b32_e64 v3, v2, v3, s[2:3]
	v_fma_f32 v2, -v5, v2, v0
	v_cmp_lt_f32_e64 s[2:3], 0, v2
	v_cndmask_b32_e64 v2, v3, v5, s[2:3]
	v_mul_f32_e32 v3, 0x37800000, v2
	v_cndmask_b32_e32 v2, v2, v3, vcc
	v_mov_b32_e32 v3, 0x260
	v_cmp_class_f32_e32 vcc, v0, v3
	v_cndmask_b32_e32 v0, v2, v0, vcc
	v_cmp_eq_u32_e32 vcc, 0, v4
	s_and_saveexec_b64 s[2:3], vcc
	s_cbranch_execz .LBB1_18
; %bb.17:
	s_lshl_b64 s[4:5], s[6:7], 2
	s_add_u32 s4, s10, s4
	s_addc_u32 s5, s11, s5
	global_store_dword v1, v0, s[4:5]
.LBB1_18:
	s_or_b64 exec, exec, s[2:3]
	s_and_saveexec_b64 s[2:3], s[0:1]
	s_cbranch_execz .LBB1_26
; %bb.19:
	v_div_scale_f32 v1, s[2:3], v0, v0, 1.0
	v_rcp_f32_e32 v2, v1
	s_lshl_b64 s[0:1], s[6:7], 2
	s_add_u32 s0, s14, s0
	s_addc_u32 s1, s15, s1
	v_fma_f32 v3, -v1, v2, 1.0
	v_fmac_f32_e32 v2, v3, v2
	v_div_scale_f32 v3, vcc, 1.0, v0, 1.0
	v_mul_f32_e32 v5, v3, v2
	v_fma_f32 v6, -v1, v5, v3
	v_fmac_f32_e32 v5, v6, v2
	v_fma_f32 v1, -v1, v5, v3
	v_cvt_f32_u32_e32 v3, s19
	v_div_fmas_f32 v1, v1, v2, v5
	v_div_fixup_f32 v0, v1, v0, 1.0
	v_add_u32_e32 v2, s19, v4
	v_rcp_iflag_f32_e32 v1, v3
	v_mov_b32_e32 v5, s19
	v_cmp_gt_i32_e32 vcc, s18, v2
	s_load_dword s2, s[0:1], 0x0
	v_mul_f32_e32 v1, 0x4f7ffffe, v1
	v_cvt_u32_f32_e32 v1, v1
	v_max_i32_e32 v3, s18, v2
	v_addc_co_u32_e64 v2, s[0:1], v4, v5, vcc
	s_sub_i32 s0, 0, s19
	v_sub_u32_e32 v2, v3, v2
	v_mul_lo_u32 v3, s0, v1
	v_mul_hi_u32 v3, v1, v3
	v_add_u32_e32 v1, v1, v3
	v_mul_hi_u32 v1, v2, v1
	v_mul_lo_u32 v3, v1, s19
	v_sub_u32_e32 v2, v2, v3
	v_add_u32_e32 v3, 1, v1
	v_cmp_le_u32_e64 s[0:1], s19, v2
	v_cndmask_b32_e64 v1, v1, v3, s[0:1]
	v_subrev_u32_e32 v3, s19, v2
	v_cndmask_b32_e64 v2, v2, v3, s[0:1]
	v_add_u32_e32 v3, 1, v1
	v_cmp_le_u32_e64 s[0:1], s19, v2
	v_cndmask_b32_e64 v1, v1, v3, s[0:1]
	v_addc_co_u32_e32 v5, vcc, 1, v1, vcc
	s_cmp_eq_u32 s19, 1
	v_cmp_lt_u32_e32 vcc, 1, v5
	s_cselect_b64 s[0:1], -1, 0
	s_and_b64 s[6:7], vcc, s[0:1]
	s_mov_b64 s[0:1], -1
	s_and_saveexec_b64 s[4:5], s[6:7]
	s_cbranch_execz .LBB1_23
; %bb.20:
	v_and_b32_e32 v6, -2, v5
	s_waitcnt lgkmcnt(0)
	s_mov_b32 s3, s2
	v_mov_b32_e32 v1, v0
	v_add_u32_e32 v2, s20, v4
	s_mov_b64 s[6:7], 0
	v_mov_b32_e32 v7, s13
	v_mov_b32_e32 v8, s9
	;; [unrolled: 1-line block ×3, first 2 shown]
.LBB1_21:                               ; =>This Inner Loop Header: Depth=1
	v_ashrrev_i32_e32 v3, 31, v2
	v_lshlrev_b64 v[10:11], 2, v[2:3]
	v_add_co_u32_e32 v12, vcc, s12, v10
	v_addc_co_u32_e32 v13, vcc, v7, v11, vcc
	global_load_dwordx2 v[12:13], v[12:13], off
	v_add_u32_e32 v9, -2, v9
	v_cmp_eq_u32_e32 vcc, 0, v9
	v_add_co_u32_e64 v10, s[0:1], s8, v10
	v_addc_co_u32_e64 v11, s[0:1], v8, v11, s[0:1]
	s_or_b64 s[6:7], vcc, s[6:7]
	v_add_u32_e32 v2, 2, v2
	s_waitcnt vmcnt(0)
	v_pk_mul_f32 v[12:13], s[2:3], v[12:13]
	v_pk_mul_f32 v[12:13], v[0:1], v[12:13]
	global_store_dwordx2 v[10:11], v[12:13], off
	s_andn2_b64 exec, exec, s[6:7]
	s_cbranch_execnz .LBB1_21
; %bb.22:
	s_or_b64 exec, exec, s[6:7]
	v_cmp_ne_u32_e32 vcc, v5, v6
	v_add_u32_e32 v4, v4, v6
	s_orn2_b64 s[0:1], vcc, exec
.LBB1_23:
	s_or_b64 exec, exec, s[4:5]
	s_and_b64 exec, exec, s[0:1]
	s_cbranch_execz .LBB1_26
; %bb.24:
	s_ashr_i32 s0, s20, 31
	v_ashrrev_i32_e32 v1, 31, v4
	v_mov_b32_e32 v3, s0
	v_add_co_u32_e32 v2, vcc, s20, v4
	v_addc_co_u32_e32 v3, vcc, v1, v3, vcc
	s_mov_b32 s4, 0
	v_lshlrev_b64 v[2:3], 2, v[2:3]
	s_lshl_b32 s3, s19, 2
	s_mov_b64 s[0:1], 0
	v_mov_b32_e32 v1, s13
	v_mov_b32_e32 v5, s9
	;; [unrolled: 1-line block ×3, first 2 shown]
.LBB1_25:                               ; =>This Inner Loop Header: Depth=1
	v_add_co_u32_e32 v8, vcc, s12, v2
	v_addc_co_u32_e32 v9, vcc, v1, v3, vcc
	global_load_dword v7, v[8:9], off
	v_add_co_u32_e32 v8, vcc, s8, v2
	v_addc_co_u32_e32 v9, vcc, v5, v3, vcc
	v_add_co_u32_e32 v2, vcc, s3, v2
	v_add_u32_e32 v4, s19, v4
	v_addc_co_u32_e32 v3, vcc, v3, v6, vcc
	v_cmp_le_i32_e32 vcc, s18, v4
	s_or_b64 s[0:1], vcc, s[0:1]
	s_waitcnt vmcnt(0) lgkmcnt(0)
	v_mul_f32_e32 v7, s2, v7
	v_mul_f32_e32 v7, v0, v7
	global_store_dword v[8:9], v7, off
	s_andn2_b64 exec, exec, s[0:1]
	s_cbranch_execnz .LBB1_25
.LBB1_26:
	s_endpgm
	.section	.rodata,"a",@progbits
	.p2align	6, 0x0
	.amdhsa_kernel _ZN2at6native12_GLOBAL__N_132weight_norm_fwd_first_dim_kernelIffEEvPT_PT0_PKS3_S8_i
		.amdhsa_group_segment_fixed_size 0
		.amdhsa_private_segment_fixed_size 0
		.amdhsa_kernarg_size 296
		.amdhsa_user_sgpr_count 6
		.amdhsa_user_sgpr_private_segment_buffer 1
		.amdhsa_user_sgpr_dispatch_ptr 0
		.amdhsa_user_sgpr_queue_ptr 0
		.amdhsa_user_sgpr_kernarg_segment_ptr 1
		.amdhsa_user_sgpr_dispatch_id 0
		.amdhsa_user_sgpr_flat_scratch_init 0
		.amdhsa_user_sgpr_kernarg_preload_length 0
		.amdhsa_user_sgpr_kernarg_preload_offset 0
		.amdhsa_user_sgpr_private_segment_size 0
		.amdhsa_uses_dynamic_stack 0
		.amdhsa_system_sgpr_private_segment_wavefront_offset 0
		.amdhsa_system_sgpr_workgroup_id_x 1
		.amdhsa_system_sgpr_workgroup_id_y 0
		.amdhsa_system_sgpr_workgroup_id_z 0
		.amdhsa_system_sgpr_workgroup_info 0
		.amdhsa_system_vgpr_workitem_id 1
		.amdhsa_next_free_vgpr 14
		.amdhsa_next_free_sgpr 22
		.amdhsa_accum_offset 16
		.amdhsa_reserve_vcc 1
		.amdhsa_reserve_flat_scratch 0
		.amdhsa_float_round_mode_32 0
		.amdhsa_float_round_mode_16_64 0
		.amdhsa_float_denorm_mode_32 3
		.amdhsa_float_denorm_mode_16_64 3
		.amdhsa_dx10_clamp 1
		.amdhsa_ieee_mode 1
		.amdhsa_fp16_overflow 0
		.amdhsa_tg_split 0
		.amdhsa_exception_fp_ieee_invalid_op 0
		.amdhsa_exception_fp_denorm_src 0
		.amdhsa_exception_fp_ieee_div_zero 0
		.amdhsa_exception_fp_ieee_overflow 0
		.amdhsa_exception_fp_ieee_underflow 0
		.amdhsa_exception_fp_ieee_inexact 0
		.amdhsa_exception_int_div_zero 0
	.end_amdhsa_kernel
	.section	.text._ZN2at6native12_GLOBAL__N_132weight_norm_fwd_first_dim_kernelIffEEvPT_PT0_PKS3_S8_i,"axG",@progbits,_ZN2at6native12_GLOBAL__N_132weight_norm_fwd_first_dim_kernelIffEEvPT_PT0_PKS3_S8_i,comdat
.Lfunc_end1:
	.size	_ZN2at6native12_GLOBAL__N_132weight_norm_fwd_first_dim_kernelIffEEvPT_PT0_PKS3_S8_i, .Lfunc_end1-_ZN2at6native12_GLOBAL__N_132weight_norm_fwd_first_dim_kernelIffEEvPT_PT0_PKS3_S8_i
                                        ; -- End function
	.section	.AMDGPU.csdata,"",@progbits
; Kernel info:
; codeLenInByte = 1384
; NumSgprs: 26
; NumVgprs: 14
; NumAgprs: 0
; TotalNumVgprs: 14
; ScratchSize: 0
; MemoryBound: 0
; FloatMode: 240
; IeeeMode: 1
; LDSByteSize: 0 bytes/workgroup (compile time only)
; SGPRBlocks: 3
; VGPRBlocks: 1
; NumSGPRsForWavesPerEU: 26
; NumVGPRsForWavesPerEU: 14
; AccumOffset: 16
; Occupancy: 8
; WaveLimiterHint : 0
; COMPUTE_PGM_RSRC2:SCRATCH_EN: 0
; COMPUTE_PGM_RSRC2:USER_SGPR: 6
; COMPUTE_PGM_RSRC2:TRAP_HANDLER: 0
; COMPUTE_PGM_RSRC2:TGID_X_EN: 1
; COMPUTE_PGM_RSRC2:TGID_Y_EN: 0
; COMPUTE_PGM_RSRC2:TGID_Z_EN: 0
; COMPUTE_PGM_RSRC2:TIDIG_COMP_CNT: 1
; COMPUTE_PGM_RSRC3_GFX90A:ACCUM_OFFSET: 3
; COMPUTE_PGM_RSRC3_GFX90A:TG_SPLIT: 0
	.section	.text._ZN2at6native12_GLOBAL__N_132weight_norm_fwd_first_dim_kernelIN3c108BFloat16EfEEvPT_PT0_PKS5_SA_i,"axG",@progbits,_ZN2at6native12_GLOBAL__N_132weight_norm_fwd_first_dim_kernelIN3c108BFloat16EfEEvPT_PT0_PKS5_SA_i,comdat
	.globl	_ZN2at6native12_GLOBAL__N_132weight_norm_fwd_first_dim_kernelIN3c108BFloat16EfEEvPT_PT0_PKS5_SA_i ; -- Begin function _ZN2at6native12_GLOBAL__N_132weight_norm_fwd_first_dim_kernelIN3c108BFloat16EfEEvPT_PT0_PKS5_SA_i
	.p2align	8
	.type	_ZN2at6native12_GLOBAL__N_132weight_norm_fwd_first_dim_kernelIN3c108BFloat16EfEEvPT_PT0_PKS5_SA_i,@function
_ZN2at6native12_GLOBAL__N_132weight_norm_fwd_first_dim_kernelIN3c108BFloat16EfEEvPT_PT0_PKS5_SA_i: ; @_ZN2at6native12_GLOBAL__N_132weight_norm_fwd_first_dim_kernelIN3c108BFloat16EfEEvPT_PT0_PKS5_SA_i
; %bb.0:
	s_load_dword s18, s[4:5], 0x20
	s_load_dword s0, s[4:5], 0x34
	s_load_dwordx8 s[8:15], s[4:5], 0x0
	v_and_b32_e32 v10, 0x3ff, v0
	s_add_u32 s2, s4, 40
	s_addc_u32 s3, s5, 0
	s_waitcnt lgkmcnt(0)
	s_and_b32 s19, s0, 0xffff
	s_mul_i32 s20, s6, s18
	v_cmp_gt_i32_e64 s[0:1], s18, v10
	v_mov_b32_e32 v1, 0
	s_and_saveexec_b64 s[4:5], s[0:1]
	s_cbranch_execz .LBB2_4
; %bb.1:
	v_add_u32_e32 v2, s20, v10
	v_ashrrev_i32_e32 v3, 31, v2
	v_lshlrev_b64 v[2:3], 1, v[2:3]
	v_mov_b32_e32 v1, s13
	v_add_co_u32_e32 v2, vcc, s12, v2
	s_mov_b32 s21, 0
	v_addc_co_u32_e32 v3, vcc, v1, v3, vcc
	s_lshl_b32 s7, s19, 1
	s_mov_b64 s[16:17], 0
	v_mov_b32_e32 v1, 0
	v_mov_b32_e32 v4, s21
	;; [unrolled: 1-line block ×3, first 2 shown]
.LBB2_2:                                ; =>This Inner Loop Header: Depth=1
	global_load_ushort v6, v[2:3], off
	v_add_co_u32_e32 v2, vcc, s7, v2
	v_add_u32_e32 v5, s19, v5
	v_addc_co_u32_e32 v3, vcc, v3, v4, vcc
	v_cmp_le_i32_e32 vcc, s18, v5
	s_or_b64 s[16:17], vcc, s[16:17]
	s_waitcnt vmcnt(0)
	v_lshlrev_b32_e32 v6, 16, v6
	v_fmac_f32_e32 v1, v6, v6
	s_andn2_b64 exec, exec, s[16:17]
	s_cbranch_execnz .LBB2_2
; %bb.3:
	s_or_b64 exec, exec, s[16:17]
.LBB2_4:
	s_or_b64 exec, exec, s[4:5]
	s_load_dword s2, s[2:3], 0xc
	v_bfe_u32 v0, v0, 10, 10
	v_mad_u32_u24 v0, v0, s19, v10
	s_waitcnt lgkmcnt(0)
	s_lshr_b32 s2, s2, 16
	s_mul_i32 s2, s2, s19
	s_cmp_gt_i32 s2, 63
	s_cselect_b64 s[4:5], -1, 0
	s_cmp_lt_i32 s2, 64
	s_cbranch_scc1 .LBB2_6
; %bb.5:
	v_lshl_add_u32 v2, v0, 2, 0
	ds_write_b32 v2, v1
	s_waitcnt lgkmcnt(0)
	s_barrier
.LBB2_6:
	s_ashr_i32 s7, s2, 1
	s_cmp_lt_i32 s7, 64
	s_cbranch_scc1 .LBB2_11
; %bb.7:
	v_lshl_add_u32 v2, v0, 2, 0
	s_branch .LBB2_9
.LBB2_8:                                ;   in Loop: Header=BB2_9 Depth=1
	s_or_b64 exec, exec, s[2:3]
	s_lshr_b32 s2, s7, 1
	s_cmpk_lt_u32 s7, 0x80
	s_mov_b32 s7, s2
	s_waitcnt lgkmcnt(0)
	s_barrier
	s_cbranch_scc1 .LBB2_11
.LBB2_9:                                ; =>This Inner Loop Header: Depth=1
	v_cmp_gt_i32_e32 vcc, s7, v0
	s_and_saveexec_b64 s[2:3], vcc
	s_cbranch_execz .LBB2_8
; %bb.10:                               ;   in Loop: Header=BB2_9 Depth=1
	v_lshl_add_u32 v3, s7, 2, v2
	ds_read_b32 v4, v2
	ds_read_b32 v3, v3
	s_waitcnt lgkmcnt(0)
	v_add_f32_e32 v3, v4, v3
	ds_write_b32 v2, v3
	s_branch .LBB2_8
.LBB2_11:
	v_cmp_gt_u32_e32 vcc, 32, v0
	s_and_saveexec_b64 s[2:3], vcc
	s_cbranch_execz .LBB2_16
; %bb.12:
	s_andn2_b64 vcc, exec, s[4:5]
	s_cbranch_vccnz .LBB2_14
; %bb.13:
	v_lshl_add_u32 v1, v0, 2, 0
	ds_read2_b32 v[2:3], v1 offset1:32
	s_waitcnt lgkmcnt(0)
	v_add_f32_e32 v1, v2, v3
.LBB2_14:
	v_mbcnt_lo_u32_b32 v2, -1, 0
	v_mbcnt_hi_u32_b32 v2, -1, v2
	v_and_b32_e32 v3, 63, v2
	v_cmp_gt_u32_e32 vcc, 48, v3
	v_cndmask_b32_e64 v4, 0, 1, vcc
	v_lshlrev_b32_e32 v4, 4, v4
	v_add_lshl_u32 v4, v4, v2, 2
	ds_bpermute_b32 v4, v4, v1
	v_cmp_gt_u32_e32 vcc, 56, v3
	v_cndmask_b32_e64 v5, 0, 1, vcc
	v_lshlrev_b32_e32 v5, 3, v5
	v_cmp_gt_u32_e32 vcc, 60, v3
	s_waitcnt lgkmcnt(0)
	v_add_f32_e32 v1, v1, v4
	v_add_lshl_u32 v4, v5, v2, 2
	ds_bpermute_b32 v4, v4, v1
	v_cndmask_b32_e64 v5, 0, 1, vcc
	v_lshlrev_b32_e32 v5, 2, v5
	v_cmp_gt_u32_e32 vcc, 62, v3
	s_waitcnt lgkmcnt(0)
	v_add_f32_e32 v1, v1, v4
	v_add_lshl_u32 v4, v5, v2, 2
	ds_bpermute_b32 v4, v4, v1
	v_cndmask_b32_e64 v5, 0, 1, vcc
	v_lshlrev_b32_e32 v5, 1, v5
	v_cmp_ne_u32_e32 vcc, 63, v3
	s_waitcnt lgkmcnt(0)
	v_add_f32_e32 v1, v1, v4
	v_add_lshl_u32 v4, v5, v2, 2
	ds_bpermute_b32 v4, v4, v1
	v_addc_co_u32_e32 v2, vcc, 0, v2, vcc
	v_lshlrev_b32_e32 v2, 2, v2
	v_cmp_eq_u32_e32 vcc, 0, v0
	s_waitcnt lgkmcnt(0)
	v_add_f32_e32 v1, v1, v4
	ds_bpermute_b32 v2, v2, v1
	s_and_b64 exec, exec, vcc
	s_cbranch_execz .LBB2_16
; %bb.15:
	s_waitcnt lgkmcnt(0)
	v_add_f32_e32 v0, v1, v2
	v_mov_b32_e32 v1, 0
	ds_write_b32 v1, v0
.LBB2_16:
	s_or_b64 exec, exec, s[2:3]
	v_mov_b32_e32 v1, 0
	s_waitcnt lgkmcnt(0)
	s_barrier
	ds_read_b32 v0, v1
	s_mov_b32 s2, 0xf800000
	s_ashr_i32 s7, s6, 31
	s_waitcnt lgkmcnt(0)
	v_mul_f32_e32 v2, 0x4f800000, v0
	v_cmp_gt_f32_e32 vcc, s2, v0
	v_cndmask_b32_e32 v0, v0, v2, vcc
	v_sqrt_f32_e32 v2, v0
	v_add_u32_e32 v3, -1, v2
	v_fma_f32 v5, -v3, v2, v0
	v_add_u32_e32 v4, 1, v2
	v_cmp_ge_f32_e64 s[2:3], 0, v5
	v_cndmask_b32_e64 v3, v2, v3, s[2:3]
	v_fma_f32 v2, -v4, v2, v0
	v_cmp_lt_f32_e64 s[2:3], 0, v2
	v_cndmask_b32_e64 v2, v3, v4, s[2:3]
	v_mul_f32_e32 v3, 0x37800000, v2
	v_cndmask_b32_e32 v2, v2, v3, vcc
	v_mov_b32_e32 v3, 0x260
	v_cmp_class_f32_e32 vcc, v0, v3
	v_cndmask_b32_e32 v0, v2, v0, vcc
	v_cmp_eq_u32_e32 vcc, 0, v10
	s_and_saveexec_b64 s[2:3], vcc
	s_cbranch_execz .LBB2_18
; %bb.17:
	s_lshl_b64 s[4:5], s[6:7], 2
	s_add_u32 s4, s10, s4
	s_addc_u32 s5, s11, s5
	global_store_dword v1, v0, s[4:5]
.LBB2_18:
	s_or_b64 exec, exec, s[2:3]
	s_and_saveexec_b64 s[2:3], s[0:1]
	s_cbranch_execz .LBB2_26
; %bb.19:
	s_lshl_b64 s[0:1], s[6:7], 1
	s_add_u32 s0, s14, s0
	s_addc_u32 s1, s15, s1
	v_mov_b32_e32 v1, 0
	global_load_ushort v1, v1, s[0:1]
	v_cvt_f32_u32_e32 v6, s19
	v_div_scale_f32 v2, s[0:1], v0, v0, 1.0
	v_add_u32_e32 v4, s19, v10
	v_rcp_f32_e32 v7, v2
	v_mov_b32_e32 v5, s19
	v_cmp_gt_i32_e64 s[0:1], s18, v4
	v_max_i32_e32 v8, s18, v4
	v_addc_co_u32_e64 v4, s[2:3], v10, v5, s[0:1]
	v_rcp_iflag_f32_e32 v5, v6
	v_fma_f32 v6, -v2, v7, 1.0
	v_div_scale_f32 v3, vcc, 1.0, v0, 1.0
	v_fmac_f32_e32 v7, v6, v7
	v_mul_f32_e32 v6, v3, v7
	v_mul_f32_e32 v5, 0x4f7ffffe, v5
	v_sub_u32_e32 v4, v8, v4
	v_fma_f32 v8, -v2, v6, v3
	v_cvt_u32_f32_e32 v5, v5
	v_fmac_f32_e32 v6, v8, v7
	v_fma_f32 v2, -v2, v6, v3
	s_sub_i32 s4, 0, s19
	v_div_fmas_f32 v2, v2, v7, v6
	v_div_fixup_f32 v0, v2, v0, 1.0
	v_mul_lo_u32 v2, s4, v5
	v_mul_hi_u32 v2, v5, v2
	v_add_u32_e32 v2, v5, v2
	v_mul_hi_u32 v2, v4, v2
	v_mul_lo_u32 v3, v2, s19
	v_sub_u32_e32 v3, v4, v3
	v_add_u32_e32 v5, 1, v2
	v_cmp_le_u32_e32 vcc, s19, v3
	v_subrev_u32_e32 v4, s19, v3
	v_cndmask_b32_e32 v2, v2, v5, vcc
	v_cndmask_b32_e32 v3, v3, v4, vcc
	v_add_u32_e32 v4, 1, v2
	v_cmp_le_u32_e32 vcc, s19, v3
	v_cndmask_b32_e32 v2, v2, v4, vcc
	s_cmp_eq_u32 s19, 1
	v_addc_co_u32_e64 v11, vcc, 1, v2, s[0:1]
	s_cselect_b64 s[2:3], -1, 0
	v_cmp_lt_u32_e32 vcc, 3, v11
	s_and_b64 s[4:5], vcc, s[2:3]
	s_mov_b64 s[0:1], -1
	s_waitcnt vmcnt(0)
	v_lshlrev_b32_e32 v2, 16, v1
	s_and_saveexec_b64 s[2:3], s[4:5]
	s_cbranch_execz .LBB2_23
; %bb.20:
	v_and_b32_e32 v12, -4, v11
	v_mov_b32_e32 v3, v2
	v_mov_b32_e32 v1, v0
	v_add_u32_e32 v4, s20, v10
	s_mov_b64 s[4:5], 0
	v_mov_b32_e32 v13, s13
	v_mov_b32_e32 v6, v2
	;; [unrolled: 1-line block ×5, first 2 shown]
	s_movk_i32 s6, 0x7fff
	v_mov_b32_e32 v14, 0x7fc0
	s_mov_b32 s7, 0x5040100
	v_mov_b32_e32 v15, s9
	v_mov_b32_e32 v16, v12
.LBB2_21:                               ; =>This Inner Loop Header: Depth=1
	v_ashrrev_i32_e32 v5, 31, v4
	v_lshlrev_b64 v[18:19], 1, v[4:5]
	v_add_co_u32_e32 v20, vcc, s12, v18
	v_addc_co_u32_e32 v21, vcc, v13, v19, vcc
	global_load_dwordx2 v[20:21], v[20:21], off
	v_add_u32_e32 v16, -4, v16
	v_cmp_eq_u32_e32 vcc, 0, v16
	s_or_b64 s[4:5], vcc, s[4:5]
	v_add_co_u32_e64 v18, s[0:1], s8, v18
	v_addc_co_u32_e64 v19, s[0:1], v15, v19, s[0:1]
	v_add_u32_e32 v4, 4, v4
	s_waitcnt vmcnt(0)
	v_and_b32_e32 v23, 0xffff0000, v20
	v_lshlrev_b32_e32 v22, 16, v20
	v_pk_mul_f32 v[22:23], v[2:3], v[22:23]
	v_and_b32_e32 v25, 0xffff0000, v21
	v_lshlrev_b32_e32 v24, 16, v21
	v_pk_mul_f32 v[22:23], v[0:1], v[22:23]
	v_pk_mul_f32 v[20:21], v[6:7], v[24:25]
	v_bfe_u32 v5, v22, 16, 1
	v_pk_mul_f32 v[20:21], v[8:9], v[20:21]
	v_bfe_u32 v17, v23, 16, 1
	v_add3_u32 v5, v22, v5, s6
	v_bfe_u32 v24, v20, 16, 1
	v_add3_u32 v17, v23, v17, s6
	v_lshrrev_b32_e32 v5, 16, v5
	v_cmp_o_f32_e32 vcc, v22, v22
	v_bfe_u32 v25, v21, 16, 1
	v_add3_u32 v24, v20, v24, s6
	v_lshrrev_b32_e32 v17, 16, v17
	v_cndmask_b32_e32 v5, v14, v5, vcc
	v_cmp_o_f32_e32 vcc, v23, v23
	v_add3_u32 v25, v21, v25, s6
	v_lshrrev_b32_e32 v24, 16, v24
	v_cndmask_b32_e32 v17, v14, v17, vcc
	v_cmp_o_f32_e32 vcc, v20, v20
	v_lshrrev_b32_e32 v25, 16, v25
	v_cndmask_b32_e32 v22, v14, v24, vcc
	v_cmp_o_f32_e32 vcc, v21, v21
	v_cndmask_b32_e32 v21, v14, v25, vcc
	v_perm_b32 v20, v17, v5, s7
	v_perm_b32 v21, v21, v22, s7
	global_store_dwordx2 v[18:19], v[20:21], off
	s_andn2_b64 exec, exec, s[4:5]
	s_cbranch_execnz .LBB2_21
; %bb.22:
	s_or_b64 exec, exec, s[4:5]
	v_cmp_ne_u32_e32 vcc, v11, v12
	v_add_u32_e32 v10, v10, v12
	s_orn2_b64 s[0:1], vcc, exec
.LBB2_23:
	s_or_b64 exec, exec, s[2:3]
	s_and_b64 exec, exec, s[0:1]
	s_cbranch_execz .LBB2_26
; %bb.24:
	s_ashr_i32 s0, s20, 31
	v_ashrrev_i32_e32 v1, 31, v10
	v_mov_b32_e32 v3, s0
	v_add_co_u32_e32 v4, vcc, s20, v10
	v_addc_co_u32_e32 v5, vcc, v1, v3, vcc
	s_mov_b32 s4, 0
	v_lshlrev_b64 v[4:5], 1, v[4:5]
	s_lshl_b32 s2, s19, 1
	s_mov_b64 s[0:1], 0
	v_mov_b32_e32 v1, s13
	s_movk_i32 s3, 0x7fff
	v_mov_b32_e32 v3, 0x7fc0
	v_mov_b32_e32 v6, s9
	;; [unrolled: 1-line block ×3, first 2 shown]
.LBB2_25:                               ; =>This Inner Loop Header: Depth=1
	v_add_co_u32_e32 v8, vcc, s12, v4
	v_addc_co_u32_e32 v9, vcc, v1, v5, vcc
	global_load_ushort v11, v[8:9], off
	v_add_co_u32_e32 v8, vcc, s8, v4
	v_addc_co_u32_e32 v9, vcc, v6, v5, vcc
	v_add_co_u32_e32 v4, vcc, s2, v4
	v_add_u32_e32 v10, s19, v10
	v_addc_co_u32_e32 v5, vcc, v5, v7, vcc
	v_cmp_le_i32_e32 vcc, s18, v10
	s_or_b64 s[0:1], vcc, s[0:1]
	s_waitcnt vmcnt(0)
	v_lshlrev_b32_e32 v11, 16, v11
	v_mul_f32_e32 v11, v2, v11
	v_mul_f32_e32 v11, v0, v11
	v_bfe_u32 v12, v11, 16, 1
	v_add3_u32 v12, v11, v12, s3
	v_lshrrev_b32_e32 v12, 16, v12
	v_cmp_o_f32_e32 vcc, v11, v11
	v_cndmask_b32_e32 v11, v3, v12, vcc
	global_store_short v[8:9], v11, off
	s_andn2_b64 exec, exec, s[0:1]
	s_cbranch_execnz .LBB2_25
.LBB2_26:
	s_endpgm
	.section	.rodata,"a",@progbits
	.p2align	6, 0x0
	.amdhsa_kernel _ZN2at6native12_GLOBAL__N_132weight_norm_fwd_first_dim_kernelIN3c108BFloat16EfEEvPT_PT0_PKS5_SA_i
		.amdhsa_group_segment_fixed_size 0
		.amdhsa_private_segment_fixed_size 0
		.amdhsa_kernarg_size 296
		.amdhsa_user_sgpr_count 6
		.amdhsa_user_sgpr_private_segment_buffer 1
		.amdhsa_user_sgpr_dispatch_ptr 0
		.amdhsa_user_sgpr_queue_ptr 0
		.amdhsa_user_sgpr_kernarg_segment_ptr 1
		.amdhsa_user_sgpr_dispatch_id 0
		.amdhsa_user_sgpr_flat_scratch_init 0
		.amdhsa_user_sgpr_kernarg_preload_length 0
		.amdhsa_user_sgpr_kernarg_preload_offset 0
		.amdhsa_user_sgpr_private_segment_size 0
		.amdhsa_uses_dynamic_stack 0
		.amdhsa_system_sgpr_private_segment_wavefront_offset 0
		.amdhsa_system_sgpr_workgroup_id_x 1
		.amdhsa_system_sgpr_workgroup_id_y 0
		.amdhsa_system_sgpr_workgroup_id_z 0
		.amdhsa_system_sgpr_workgroup_info 0
		.amdhsa_system_vgpr_workitem_id 1
		.amdhsa_next_free_vgpr 26
		.amdhsa_next_free_sgpr 22
		.amdhsa_accum_offset 28
		.amdhsa_reserve_vcc 1
		.amdhsa_reserve_flat_scratch 0
		.amdhsa_float_round_mode_32 0
		.amdhsa_float_round_mode_16_64 0
		.amdhsa_float_denorm_mode_32 3
		.amdhsa_float_denorm_mode_16_64 3
		.amdhsa_dx10_clamp 1
		.amdhsa_ieee_mode 1
		.amdhsa_fp16_overflow 0
		.amdhsa_tg_split 0
		.amdhsa_exception_fp_ieee_invalid_op 0
		.amdhsa_exception_fp_denorm_src 0
		.amdhsa_exception_fp_ieee_div_zero 0
		.amdhsa_exception_fp_ieee_overflow 0
		.amdhsa_exception_fp_ieee_underflow 0
		.amdhsa_exception_fp_ieee_inexact 0
		.amdhsa_exception_int_div_zero 0
	.end_amdhsa_kernel
	.section	.text._ZN2at6native12_GLOBAL__N_132weight_norm_fwd_first_dim_kernelIN3c108BFloat16EfEEvPT_PT0_PKS5_SA_i,"axG",@progbits,_ZN2at6native12_GLOBAL__N_132weight_norm_fwd_first_dim_kernelIN3c108BFloat16EfEEvPT_PT0_PKS5_SA_i,comdat
.Lfunc_end2:
	.size	_ZN2at6native12_GLOBAL__N_132weight_norm_fwd_first_dim_kernelIN3c108BFloat16EfEEvPT_PT0_PKS5_SA_i, .Lfunc_end2-_ZN2at6native12_GLOBAL__N_132weight_norm_fwd_first_dim_kernelIN3c108BFloat16EfEEvPT_PT0_PKS5_SA_i
                                        ; -- End function
	.section	.AMDGPU.csdata,"",@progbits
; Kernel info:
; codeLenInByte = 1632
; NumSgprs: 26
; NumVgprs: 26
; NumAgprs: 0
; TotalNumVgprs: 26
; ScratchSize: 0
; MemoryBound: 0
; FloatMode: 240
; IeeeMode: 1
; LDSByteSize: 0 bytes/workgroup (compile time only)
; SGPRBlocks: 3
; VGPRBlocks: 3
; NumSGPRsForWavesPerEU: 26
; NumVGPRsForWavesPerEU: 26
; AccumOffset: 28
; Occupancy: 8
; WaveLimiterHint : 0
; COMPUTE_PGM_RSRC2:SCRATCH_EN: 0
; COMPUTE_PGM_RSRC2:USER_SGPR: 6
; COMPUTE_PGM_RSRC2:TRAP_HANDLER: 0
; COMPUTE_PGM_RSRC2:TGID_X_EN: 1
; COMPUTE_PGM_RSRC2:TGID_Y_EN: 0
; COMPUTE_PGM_RSRC2:TGID_Z_EN: 0
; COMPUTE_PGM_RSRC2:TIDIG_COMP_CNT: 1
; COMPUTE_PGM_RSRC3_GFX90A:ACCUM_OFFSET: 6
; COMPUTE_PGM_RSRC3_GFX90A:TG_SPLIT: 0
	.section	.text._ZN2at6native12_GLOBAL__N_132weight_norm_fwd_first_dim_kernelIN3c104HalfEfEEvPT_PT0_PKS5_SA_i,"axG",@progbits,_ZN2at6native12_GLOBAL__N_132weight_norm_fwd_first_dim_kernelIN3c104HalfEfEEvPT_PT0_PKS5_SA_i,comdat
	.globl	_ZN2at6native12_GLOBAL__N_132weight_norm_fwd_first_dim_kernelIN3c104HalfEfEEvPT_PT0_PKS5_SA_i ; -- Begin function _ZN2at6native12_GLOBAL__N_132weight_norm_fwd_first_dim_kernelIN3c104HalfEfEEvPT_PT0_PKS5_SA_i
	.p2align	8
	.type	_ZN2at6native12_GLOBAL__N_132weight_norm_fwd_first_dim_kernelIN3c104HalfEfEEvPT_PT0_PKS5_SA_i,@function
_ZN2at6native12_GLOBAL__N_132weight_norm_fwd_first_dim_kernelIN3c104HalfEfEEvPT_PT0_PKS5_SA_i: ; @_ZN2at6native12_GLOBAL__N_132weight_norm_fwd_first_dim_kernelIN3c104HalfEfEEvPT_PT0_PKS5_SA_i
; %bb.0:
	s_load_dword s18, s[4:5], 0x20
	s_load_dword s0, s[4:5], 0x34
	s_load_dwordx8 s[8:15], s[4:5], 0x0
	v_and_b32_e32 v10, 0x3ff, v0
	s_add_u32 s2, s4, 40
	s_addc_u32 s3, s5, 0
	s_waitcnt lgkmcnt(0)
	s_and_b32 s19, s0, 0xffff
	s_mul_i32 s20, s6, s18
	v_cmp_gt_i32_e64 s[0:1], s18, v10
	v_mov_b32_e32 v1, 0
	s_and_saveexec_b64 s[4:5], s[0:1]
	s_cbranch_execz .LBB3_4
; %bb.1:
	v_add_u32_e32 v2, s20, v10
	v_ashrrev_i32_e32 v3, 31, v2
	v_lshlrev_b64 v[2:3], 1, v[2:3]
	v_mov_b32_e32 v1, s13
	v_add_co_u32_e32 v2, vcc, s12, v2
	s_mov_b32 s21, 0
	v_addc_co_u32_e32 v3, vcc, v1, v3, vcc
	s_lshl_b32 s7, s19, 1
	s_mov_b64 s[16:17], 0
	v_mov_b32_e32 v1, 0
	v_mov_b32_e32 v4, s21
	;; [unrolled: 1-line block ×3, first 2 shown]
.LBB3_2:                                ; =>This Inner Loop Header: Depth=1
	global_load_ushort v6, v[2:3], off
	v_add_co_u32_e32 v2, vcc, s7, v2
	v_add_u32_e32 v5, s19, v5
	v_addc_co_u32_e32 v3, vcc, v3, v4, vcc
	v_cmp_le_i32_e32 vcc, s18, v5
	s_or_b64 s[16:17], vcc, s[16:17]
	s_waitcnt vmcnt(0)
	v_fma_mix_f32 v1, v6, v6, v1 op_sel_hi:[1,1,0]
	s_andn2_b64 exec, exec, s[16:17]
	s_cbranch_execnz .LBB3_2
; %bb.3:
	s_or_b64 exec, exec, s[16:17]
.LBB3_4:
	s_or_b64 exec, exec, s[4:5]
	s_load_dword s2, s[2:3], 0xc
	v_bfe_u32 v0, v0, 10, 10
	v_mad_u32_u24 v0, v0, s19, v10
	s_waitcnt lgkmcnt(0)
	s_lshr_b32 s2, s2, 16
	s_mul_i32 s2, s2, s19
	s_cmp_gt_i32 s2, 63
	s_cselect_b64 s[4:5], -1, 0
	s_cmp_lt_i32 s2, 64
	s_cbranch_scc1 .LBB3_6
; %bb.5:
	v_lshl_add_u32 v2, v0, 2, 0
	ds_write_b32 v2, v1
	s_waitcnt lgkmcnt(0)
	s_barrier
.LBB3_6:
	s_ashr_i32 s7, s2, 1
	s_cmp_lt_i32 s7, 64
	s_cbranch_scc1 .LBB3_11
; %bb.7:
	v_lshl_add_u32 v2, v0, 2, 0
	s_branch .LBB3_9
.LBB3_8:                                ;   in Loop: Header=BB3_9 Depth=1
	s_or_b64 exec, exec, s[2:3]
	s_lshr_b32 s2, s7, 1
	s_cmpk_lt_u32 s7, 0x80
	s_mov_b32 s7, s2
	s_waitcnt lgkmcnt(0)
	s_barrier
	s_cbranch_scc1 .LBB3_11
.LBB3_9:                                ; =>This Inner Loop Header: Depth=1
	v_cmp_gt_i32_e32 vcc, s7, v0
	s_and_saveexec_b64 s[2:3], vcc
	s_cbranch_execz .LBB3_8
; %bb.10:                               ;   in Loop: Header=BB3_9 Depth=1
	v_lshl_add_u32 v3, s7, 2, v2
	ds_read_b32 v4, v2
	ds_read_b32 v3, v3
	s_waitcnt lgkmcnt(0)
	v_add_f32_e32 v3, v4, v3
	ds_write_b32 v2, v3
	s_branch .LBB3_8
.LBB3_11:
	v_cmp_gt_u32_e32 vcc, 32, v0
	s_and_saveexec_b64 s[2:3], vcc
	s_cbranch_execz .LBB3_16
; %bb.12:
	s_andn2_b64 vcc, exec, s[4:5]
	s_cbranch_vccnz .LBB3_14
; %bb.13:
	v_lshl_add_u32 v1, v0, 2, 0
	ds_read2_b32 v[2:3], v1 offset1:32
	s_waitcnt lgkmcnt(0)
	v_add_f32_e32 v1, v2, v3
.LBB3_14:
	v_mbcnt_lo_u32_b32 v2, -1, 0
	v_mbcnt_hi_u32_b32 v2, -1, v2
	v_and_b32_e32 v3, 63, v2
	v_cmp_gt_u32_e32 vcc, 48, v3
	v_cndmask_b32_e64 v4, 0, 1, vcc
	v_lshlrev_b32_e32 v4, 4, v4
	v_add_lshl_u32 v4, v4, v2, 2
	ds_bpermute_b32 v4, v4, v1
	v_cmp_gt_u32_e32 vcc, 56, v3
	v_cndmask_b32_e64 v5, 0, 1, vcc
	v_lshlrev_b32_e32 v5, 3, v5
	v_cmp_gt_u32_e32 vcc, 60, v3
	s_waitcnt lgkmcnt(0)
	v_add_f32_e32 v1, v1, v4
	v_add_lshl_u32 v4, v5, v2, 2
	ds_bpermute_b32 v4, v4, v1
	v_cndmask_b32_e64 v5, 0, 1, vcc
	v_lshlrev_b32_e32 v5, 2, v5
	v_cmp_gt_u32_e32 vcc, 62, v3
	s_waitcnt lgkmcnt(0)
	v_add_f32_e32 v1, v1, v4
	v_add_lshl_u32 v4, v5, v2, 2
	ds_bpermute_b32 v4, v4, v1
	v_cndmask_b32_e64 v5, 0, 1, vcc
	v_lshlrev_b32_e32 v5, 1, v5
	v_cmp_ne_u32_e32 vcc, 63, v3
	s_waitcnt lgkmcnt(0)
	v_add_f32_e32 v1, v1, v4
	v_add_lshl_u32 v4, v5, v2, 2
	ds_bpermute_b32 v4, v4, v1
	v_addc_co_u32_e32 v2, vcc, 0, v2, vcc
	v_lshlrev_b32_e32 v2, 2, v2
	v_cmp_eq_u32_e32 vcc, 0, v0
	s_waitcnt lgkmcnt(0)
	v_add_f32_e32 v1, v1, v4
	ds_bpermute_b32 v2, v2, v1
	s_and_b64 exec, exec, vcc
	s_cbranch_execz .LBB3_16
; %bb.15:
	s_waitcnt lgkmcnt(0)
	v_add_f32_e32 v0, v1, v2
	v_mov_b32_e32 v1, 0
	ds_write_b32 v1, v0
.LBB3_16:
	s_or_b64 exec, exec, s[2:3]
	v_mov_b32_e32 v1, 0
	s_waitcnt lgkmcnt(0)
	s_barrier
	ds_read_b32 v0, v1
	s_mov_b32 s2, 0xf800000
	s_ashr_i32 s7, s6, 31
	s_waitcnt lgkmcnt(0)
	v_mul_f32_e32 v2, 0x4f800000, v0
	v_cmp_gt_f32_e32 vcc, s2, v0
	v_cndmask_b32_e32 v0, v0, v2, vcc
	v_sqrt_f32_e32 v2, v0
	v_add_u32_e32 v3, -1, v2
	v_fma_f32 v5, -v3, v2, v0
	v_add_u32_e32 v4, 1, v2
	v_cmp_ge_f32_e64 s[2:3], 0, v5
	v_cndmask_b32_e64 v3, v2, v3, s[2:3]
	v_fma_f32 v2, -v4, v2, v0
	v_cmp_lt_f32_e64 s[2:3], 0, v2
	v_cndmask_b32_e64 v2, v3, v4, s[2:3]
	v_mul_f32_e32 v3, 0x37800000, v2
	v_cndmask_b32_e32 v2, v2, v3, vcc
	v_mov_b32_e32 v3, 0x260
	v_cmp_class_f32_e32 vcc, v0, v3
	v_cndmask_b32_e32 v0, v2, v0, vcc
	v_cmp_eq_u32_e32 vcc, 0, v10
	s_and_saveexec_b64 s[2:3], vcc
	s_cbranch_execz .LBB3_18
; %bb.17:
	s_lshl_b64 s[4:5], s[6:7], 2
	s_add_u32 s4, s10, s4
	s_addc_u32 s5, s11, s5
	global_store_dword v1, v0, s[4:5]
.LBB3_18:
	s_or_b64 exec, exec, s[2:3]
	s_and_saveexec_b64 s[2:3], s[0:1]
	s_cbranch_execz .LBB3_26
; %bb.19:
	s_lshl_b64 s[0:1], s[6:7], 1
	s_add_u32 s0, s14, s0
	s_addc_u32 s1, s15, s1
	v_mov_b32_e32 v1, 0
	global_load_ushort v1, v1, s[0:1]
	v_cvt_f32_u32_e32 v6, s19
	v_div_scale_f32 v2, s[0:1], v0, v0, 1.0
	v_add_u32_e32 v4, s19, v10
	v_rcp_f32_e32 v7, v2
	v_mov_b32_e32 v5, s19
	v_cmp_gt_i32_e64 s[0:1], s18, v4
	v_max_i32_e32 v8, s18, v4
	v_addc_co_u32_e64 v4, s[2:3], v10, v5, s[0:1]
	v_rcp_iflag_f32_e32 v5, v6
	v_fma_f32 v6, -v2, v7, 1.0
	v_div_scale_f32 v3, vcc, 1.0, v0, 1.0
	v_fmac_f32_e32 v7, v6, v7
	v_mul_f32_e32 v6, v3, v7
	v_mul_f32_e32 v5, 0x4f7ffffe, v5
	v_sub_u32_e32 v4, v8, v4
	v_fma_f32 v8, -v2, v6, v3
	v_cvt_u32_f32_e32 v5, v5
	v_fmac_f32_e32 v6, v8, v7
	v_fma_f32 v2, -v2, v6, v3
	s_sub_i32 s2, 0, s19
	v_div_fmas_f32 v2, v2, v7, v6
	v_div_fixup_f32 v0, v2, v0, 1.0
	v_mul_lo_u32 v2, s2, v5
	v_mul_hi_u32 v2, v5, v2
	v_add_u32_e32 v2, v5, v2
	v_mul_hi_u32 v2, v4, v2
	v_mul_lo_u32 v3, v2, s19
	v_sub_u32_e32 v3, v4, v3
	v_add_u32_e32 v5, 1, v2
	v_cmp_le_u32_e32 vcc, s19, v3
	v_subrev_u32_e32 v4, s19, v3
	v_cndmask_b32_e32 v2, v2, v5, vcc
	v_cndmask_b32_e32 v3, v3, v4, vcc
	v_add_u32_e32 v4, 1, v2
	v_cmp_le_u32_e32 vcc, s19, v3
	v_cndmask_b32_e32 v2, v2, v4, vcc
	v_addc_co_u32_e64 v11, vcc, 1, v2, s[0:1]
	s_cmp_eq_u32 s19, 1
	v_cmp_lt_u32_e32 vcc, 3, v11
	s_cselect_b64 s[0:1], -1, 0
	s_and_b64 s[4:5], vcc, s[0:1]
	s_mov_b64 s[0:1], -1
	s_waitcnt vmcnt(0)
	v_cvt_f32_f16_e32 v2, v1
	s_and_saveexec_b64 s[2:3], s[4:5]
	s_cbranch_execz .LBB3_23
; %bb.20:
	v_and_b32_e32 v12, -4, v11
	v_mov_b32_e32 v3, v2
	v_mov_b32_e32 v1, v0
	v_add_u32_e32 v4, s20, v10
	s_mov_b64 s[4:5], 0
	v_mov_b32_e32 v13, s13
	v_mov_b32_e32 v6, v2
	;; [unrolled: 1-line block ×7, first 2 shown]
.LBB3_21:                               ; =>This Inner Loop Header: Depth=1
	v_ashrrev_i32_e32 v5, 31, v4
	v_lshlrev_b64 v[16:17], 1, v[4:5]
	v_add_co_u32_e32 v18, vcc, s12, v16
	v_addc_co_u32_e32 v19, vcc, v13, v17, vcc
	global_load_dwordx2 v[18:19], v[18:19], off
	v_add_u32_e32 v15, -4, v15
	v_cmp_eq_u32_e32 vcc, 0, v15
	v_add_co_u32_e64 v16, s[0:1], s8, v16
	v_addc_co_u32_e64 v17, s[0:1], v14, v17, s[0:1]
	s_or_b64 s[4:5], vcc, s[4:5]
	v_add_u32_e32 v4, 4, v4
	s_waitcnt vmcnt(0)
	v_cvt_f32_f16_e32 v20, v18
	v_cvt_f32_f16_e32 v22, v19
	v_cvt_f32_f16_sdwa v23, v19 dst_sel:DWORD dst_unused:UNUSED_PAD src0_sel:WORD_1
	v_cvt_f32_f16_sdwa v21, v18 dst_sel:DWORD dst_unused:UNUSED_PAD src0_sel:WORD_1
	v_pk_mul_f32 v[18:19], v[6:7], v[22:23]
	v_pk_mul_f32 v[20:21], v[2:3], v[20:21]
	v_pk_mul_f32 v[20:21], v[0:1], v[20:21]
	v_pk_mul_f32 v[18:19], v[8:9], v[18:19]
	v_cvt_f16_f32_e32 v5, v19
	v_cvt_f16_f32_e32 v18, v18
	;; [unrolled: 1-line block ×4, first 2 shown]
	v_pack_b32_f16 v19, v18, v5
	v_pack_b32_f16 v18, v20, v21
	global_store_dwordx2 v[16:17], v[18:19], off
	s_andn2_b64 exec, exec, s[4:5]
	s_cbranch_execnz .LBB3_21
; %bb.22:
	s_or_b64 exec, exec, s[4:5]
	v_cmp_ne_u32_e32 vcc, v11, v12
	v_add_u32_e32 v10, v10, v12
	s_orn2_b64 s[0:1], vcc, exec
.LBB3_23:
	s_or_b64 exec, exec, s[2:3]
	s_and_b64 exec, exec, s[0:1]
	s_cbranch_execz .LBB3_26
; %bb.24:
	s_ashr_i32 s0, s20, 31
	v_ashrrev_i32_e32 v1, 31, v10
	v_mov_b32_e32 v3, s0
	v_add_co_u32_e32 v4, vcc, s20, v10
	v_addc_co_u32_e32 v5, vcc, v1, v3, vcc
	s_mov_b32 s3, 0
	v_lshlrev_b64 v[4:5], 1, v[4:5]
	s_lshl_b32 s2, s19, 1
	s_mov_b64 s[0:1], 0
	v_mov_b32_e32 v1, s13
	v_mov_b32_e32 v3, s9
	;; [unrolled: 1-line block ×3, first 2 shown]
.LBB3_25:                               ; =>This Inner Loop Header: Depth=1
	v_add_co_u32_e32 v8, vcc, s12, v4
	v_addc_co_u32_e32 v9, vcc, v1, v5, vcc
	global_load_ushort v7, v[8:9], off
	v_add_co_u32_e32 v8, vcc, s8, v4
	v_addc_co_u32_e32 v9, vcc, v3, v5, vcc
	v_add_co_u32_e32 v4, vcc, s2, v4
	v_add_u32_e32 v10, s19, v10
	v_addc_co_u32_e32 v5, vcc, v5, v6, vcc
	v_cmp_le_i32_e32 vcc, s18, v10
	s_or_b64 s[0:1], vcc, s[0:1]
	s_waitcnt vmcnt(0)
	v_cvt_f32_f16_e32 v7, v7
	v_mul_f32_e32 v7, v2, v7
	v_fma_mixlo_f16 v7, v0, v7, 0
	global_store_short v[8:9], v7, off
	s_andn2_b64 exec, exec, s[0:1]
	s_cbranch_execnz .LBB3_25
.LBB3_26:
	s_endpgm
	.section	.rodata,"a",@progbits
	.p2align	6, 0x0
	.amdhsa_kernel _ZN2at6native12_GLOBAL__N_132weight_norm_fwd_first_dim_kernelIN3c104HalfEfEEvPT_PT0_PKS5_SA_i
		.amdhsa_group_segment_fixed_size 0
		.amdhsa_private_segment_fixed_size 0
		.amdhsa_kernarg_size 296
		.amdhsa_user_sgpr_count 6
		.amdhsa_user_sgpr_private_segment_buffer 1
		.amdhsa_user_sgpr_dispatch_ptr 0
		.amdhsa_user_sgpr_queue_ptr 0
		.amdhsa_user_sgpr_kernarg_segment_ptr 1
		.amdhsa_user_sgpr_dispatch_id 0
		.amdhsa_user_sgpr_flat_scratch_init 0
		.amdhsa_user_sgpr_kernarg_preload_length 0
		.amdhsa_user_sgpr_kernarg_preload_offset 0
		.amdhsa_user_sgpr_private_segment_size 0
		.amdhsa_uses_dynamic_stack 0
		.amdhsa_system_sgpr_private_segment_wavefront_offset 0
		.amdhsa_system_sgpr_workgroup_id_x 1
		.amdhsa_system_sgpr_workgroup_id_y 0
		.amdhsa_system_sgpr_workgroup_id_z 0
		.amdhsa_system_sgpr_workgroup_info 0
		.amdhsa_system_vgpr_workitem_id 1
		.amdhsa_next_free_vgpr 24
		.amdhsa_next_free_sgpr 22
		.amdhsa_accum_offset 24
		.amdhsa_reserve_vcc 1
		.amdhsa_reserve_flat_scratch 0
		.amdhsa_float_round_mode_32 0
		.amdhsa_float_round_mode_16_64 0
		.amdhsa_float_denorm_mode_32 3
		.amdhsa_float_denorm_mode_16_64 3
		.amdhsa_dx10_clamp 1
		.amdhsa_ieee_mode 1
		.amdhsa_fp16_overflow 0
		.amdhsa_tg_split 0
		.amdhsa_exception_fp_ieee_invalid_op 0
		.amdhsa_exception_fp_denorm_src 0
		.amdhsa_exception_fp_ieee_div_zero 0
		.amdhsa_exception_fp_ieee_overflow 0
		.amdhsa_exception_fp_ieee_underflow 0
		.amdhsa_exception_fp_ieee_inexact 0
		.amdhsa_exception_int_div_zero 0
	.end_amdhsa_kernel
	.section	.text._ZN2at6native12_GLOBAL__N_132weight_norm_fwd_first_dim_kernelIN3c104HalfEfEEvPT_PT0_PKS5_SA_i,"axG",@progbits,_ZN2at6native12_GLOBAL__N_132weight_norm_fwd_first_dim_kernelIN3c104HalfEfEEvPT_PT0_PKS5_SA_i,comdat
.Lfunc_end3:
	.size	_ZN2at6native12_GLOBAL__N_132weight_norm_fwd_first_dim_kernelIN3c104HalfEfEEvPT_PT0_PKS5_SA_i, .Lfunc_end3-_ZN2at6native12_GLOBAL__N_132weight_norm_fwd_first_dim_kernelIN3c104HalfEfEEvPT_PT0_PKS5_SA_i
                                        ; -- End function
	.section	.AMDGPU.csdata,"",@progbits
; Kernel info:
; codeLenInByte = 1480
; NumSgprs: 26
; NumVgprs: 24
; NumAgprs: 0
; TotalNumVgprs: 24
; ScratchSize: 0
; MemoryBound: 0
; FloatMode: 240
; IeeeMode: 1
; LDSByteSize: 0 bytes/workgroup (compile time only)
; SGPRBlocks: 3
; VGPRBlocks: 2
; NumSGPRsForWavesPerEU: 26
; NumVGPRsForWavesPerEU: 24
; AccumOffset: 24
; Occupancy: 8
; WaveLimiterHint : 0
; COMPUTE_PGM_RSRC2:SCRATCH_EN: 0
; COMPUTE_PGM_RSRC2:USER_SGPR: 6
; COMPUTE_PGM_RSRC2:TRAP_HANDLER: 0
; COMPUTE_PGM_RSRC2:TGID_X_EN: 1
; COMPUTE_PGM_RSRC2:TGID_Y_EN: 0
; COMPUTE_PGM_RSRC2:TGID_Z_EN: 0
; COMPUTE_PGM_RSRC2:TIDIG_COMP_CNT: 1
; COMPUTE_PGM_RSRC3_GFX90A:ACCUM_OFFSET: 5
; COMPUTE_PGM_RSRC3_GFX90A:TG_SPLIT: 0
	.section	.text._ZN2at6native12_GLOBAL__N_131weight_norm_fwd_last_dim_kernelIddEEvPT_PT0_PKS3_S8_ii,"axG",@progbits,_ZN2at6native12_GLOBAL__N_131weight_norm_fwd_last_dim_kernelIddEEvPT_PT0_PKS3_S8_ii,comdat
	.globl	_ZN2at6native12_GLOBAL__N_131weight_norm_fwd_last_dim_kernelIddEEvPT_PT0_PKS3_S8_ii ; -- Begin function _ZN2at6native12_GLOBAL__N_131weight_norm_fwd_last_dim_kernelIddEEvPT_PT0_PKS3_S8_ii
	.p2align	8
	.type	_ZN2at6native12_GLOBAL__N_131weight_norm_fwd_last_dim_kernelIddEEvPT_PT0_PKS3_S8_ii,@function
_ZN2at6native12_GLOBAL__N_131weight_norm_fwd_last_dim_kernelIddEEvPT_PT0_PKS3_S8_ii: ; @_ZN2at6native12_GLOBAL__N_131weight_norm_fwd_last_dim_kernelIddEEvPT_PT0_PKS3_S8_ii
; %bb.0:
	s_load_dword s0, s[4:5], 0x34
	s_load_dwordx2 s[2:3], s[4:5], 0x20
	s_load_dwordx8 s[8:15], s[4:5], 0x0
	v_and_b32_e32 v9, 0x3ff, v0
	v_bfe_u32 v8, v0, 10, 10
	s_waitcnt lgkmcnt(0)
	s_and_b32 s17, s0, 0xffff
	s_mul_i32 s6, s6, s17
	v_add_u32_e32 v2, s6, v9
	s_lshr_b32 s16, s0, 16
	v_mad_u64_u32 v[0:1], s[0:1], v8, s2, v[2:3]
	v_cmp_gt_i32_e32 vcc, s2, v2
	v_cmp_gt_i32_e64 s[0:1], s3, v8
	s_and_b64 s[4:5], vcc, s[0:1]
	v_pk_mov_b32 v[4:5], 0, 0
	s_mul_i32 s2, s16, s2
	s_and_saveexec_b64 s[0:1], s[4:5]
	s_cbranch_execz .LBB4_4
; %bb.1:
	s_mov_b64 s[6:7], 0
	v_pk_mov_b32 v[4:5], 0, 0
	v_mov_b32_e32 v1, s13
	v_mov_b32_e32 v3, v8
	;; [unrolled: 1-line block ×3, first 2 shown]
.LBB4_2:                                ; =>This Inner Loop Header: Depth=1
	v_ashrrev_i32_e32 v7, 31, v6
	v_lshlrev_b64 v[10:11], 3, v[6:7]
	v_add_co_u32_e32 v10, vcc, s12, v10
	v_addc_co_u32_e32 v11, vcc, v1, v11, vcc
	global_load_dwordx2 v[10:11], v[10:11], off
	v_add_u32_e32 v3, s16, v3
	v_cmp_le_i32_e32 vcc, s3, v3
	s_or_b64 s[6:7], vcc, s[6:7]
	v_add_u32_e32 v6, s2, v6
	s_waitcnt vmcnt(0)
	v_fmac_f64_e32 v[4:5], v[10:11], v[10:11]
	s_andn2_b64 exec, exec, s[6:7]
	s_cbranch_execnz .LBB4_2
; %bb.3:
	s_or_b64 exec, exec, s[6:7]
.LBB4_4:
	s_or_b64 exec, exec, s[0:1]
	s_mul_i32 s18, s16, s17
	v_mad_u32_u24 v3, v8, s17, v9
	s_cmp_gt_i32 s18, 63
	s_cselect_b64 s[6:7], -1, 0
	s_cmp_lt_i32 s18, 64
	v_lshl_add_u32 v1, v3, 3, 0
	s_cbranch_scc1 .LBB4_6
; %bb.5:
	ds_write_b64 v1, v[4:5]
	s_waitcnt lgkmcnt(0)
	s_barrier
.LBB4_6:
	s_ashr_i32 s19, s18, 1
	s_cmp_lt_i32 s19, 64
	s_cbranch_scc0 .LBB4_22
.LBB4_7:
	v_cmp_gt_u32_e32 vcc, 32, v3
	s_and_saveexec_b64 s[0:1], vcc
	s_cbranch_execz .LBB4_15
; %bb.8:
	s_andn2_b64 vcc, exec, s[6:7]
	s_cbranch_vccnz .LBB4_10
; %bb.9:
	ds_read2_b64 v[4:7], v1 offset1:32
	s_waitcnt lgkmcnt(0)
	v_add_f64 v[4:5], v[4:5], v[6:7]
.LBB4_10:
	s_cmp_gt_u32 s17, 16
	s_mov_b32 s6, 16
	s_cbranch_scc1 .LBB4_13
; %bb.11:
	v_mbcnt_lo_u32_b32 v6, -1, 0
	v_mbcnt_hi_u32_b32 v6, -1, v6
	v_and_b32_e32 v7, 63, v6
.LBB4_12:                               ; =>This Inner Loop Header: Depth=1
	v_add_u32_e32 v10, s6, v7
	v_mov_b32_e32 v11, s6
	v_cmp_gt_u32_e32 vcc, 64, v10
	v_cndmask_b32_e32 v10, 0, v11, vcc
	v_add_lshl_u32 v11, v10, v6, 2
	ds_bpermute_b32 v10, v11, v4
	ds_bpermute_b32 v11, v11, v5
	s_lshr_b32 s6, s6, 1
	s_cmp_lt_u32 s6, s17
	s_waitcnt lgkmcnt(0)
	v_add_f64 v[4:5], v[4:5], v[10:11]
	s_cbranch_scc0 .LBB4_12
.LBB4_13:
	v_cmp_gt_u32_e32 vcc, s17, v3
	s_and_b64 exec, exec, vcc
	s_cbranch_execz .LBB4_15
; %bb.14:
	ds_write_b64 v1, v[4:5]
.LBB4_15:
	s_or_b64 exec, exec, s[0:1]
	s_lshl_b32 s17, s18, 3
	v_cmp_ne_u32_e32 vcc, 0, v8
	v_ashrrev_i32_e32 v3, 31, v2
	s_waitcnt lgkmcnt(0)
	s_barrier
	s_and_saveexec_b64 s[0:1], vcc
	s_xor_b64 s[0:1], exec, s[0:1]
	s_or_saveexec_b64 s[6:7], s[0:1]
	s_add_i32 s17, s17, 0
	s_xor_b64 exec, exec, s[6:7]
	s_cbranch_execz .LBB4_17
; %bb.16:
	v_lshlrev_b32_e32 v1, 3, v9
	v_add_u32_e32 v4, 0, v1
	ds_read_b64 v[4:5], v4
	s_mov_b32 s0, 0xf800000
	v_mov_b32_e32 v6, 0x260
	v_mov_b32_e32 v14, s11
	v_add_u32_e32 v1, s17, v1
	s_waitcnt lgkmcnt(0)
	v_cvt_f32_f64_e32 v4, v[4:5]
	v_mul_f32_e32 v5, 0x4f800000, v4
	v_cmp_gt_f32_e32 vcc, s0, v4
	v_cndmask_b32_e32 v4, v4, v5, vcc
	v_sqrt_f32_e32 v5, v4
	v_add_u32_e32 v7, -1, v5
	v_add_u32_e32 v10, 1, v5
	v_fma_f32 v11, -v7, v5, v4
	v_fma_f32 v12, -v10, v5, v4
	v_cmp_ge_f32_e64 s[0:1], 0, v11
	v_cndmask_b32_e64 v5, v5, v7, s[0:1]
	v_cmp_lt_f32_e64 s[0:1], 0, v12
	v_cndmask_b32_e64 v5, v5, v10, s[0:1]
	v_mul_f32_e32 v7, 0x37800000, v5
	v_cndmask_b32_e32 v5, v5, v7, vcc
	v_cmp_class_f32_e32 vcc, v4, v6
	v_cndmask_b32_e32 v4, v5, v4, vcc
	v_cvt_f64_f32_e32 v[4:5], v4
	v_div_scale_f64 v[10:11], s[0:1], v[4:5], v[4:5], 1.0
	v_rcp_f64_e32 v[12:13], v[10:11]
	v_lshlrev_b64 v[6:7], 3, v[2:3]
	v_add_co_u32_e32 v6, vcc, s10, v6
	v_addc_co_u32_e32 v7, vcc, v14, v7, vcc
	global_store_dwordx2 v[6:7], v[4:5], off
	v_fma_f64 v[6:7], -v[10:11], v[12:13], 1.0
	v_fmac_f64_e32 v[12:13], v[12:13], v[6:7]
	v_fma_f64 v[6:7], -v[10:11], v[12:13], 1.0
	v_fmac_f64_e32 v[12:13], v[12:13], v[6:7]
	v_div_scale_f64 v[6:7], vcc, 1.0, v[4:5], 1.0
	v_mul_f64 v[14:15], v[6:7], v[12:13]
	v_fma_f64 v[6:7], -v[10:11], v[14:15], v[6:7]
	s_nop 1
	v_div_fmas_f64 v[6:7], v[6:7], v[12:13], v[14:15]
	v_div_fixup_f64 v[4:5], v[6:7], v[4:5], 1.0
	ds_write_b64 v1, v[4:5]
.LBB4_17:
	s_or_b64 exec, exec, s[6:7]
	s_waitcnt lgkmcnt(0)
	s_barrier
	s_and_saveexec_b64 s[0:1], s[4:5]
	s_cbranch_execz .LBB4_20
; %bb.18:
	v_lshlrev_b64 v[2:3], 3, v[2:3]
	v_mov_b32_e32 v1, s15
	v_add_co_u32_e32 v2, vcc, s14, v2
	v_addc_co_u32_e32 v3, vcc, v1, v3, vcc
	global_load_dwordx2 v[2:3], v[2:3], off
	v_lshl_add_u32 v1, v9, 3, s17
	ds_read_b64 v[4:5], v1
	s_mov_b64 s[4:5], 0
	v_mov_b32_e32 v6, s13
	v_mov_b32_e32 v7, s9
.LBB4_19:                               ; =>This Inner Loop Header: Depth=1
	v_ashrrev_i32_e32 v1, 31, v0
	v_lshlrev_b64 v[10:11], 3, v[0:1]
	v_add_co_u32_e32 v12, vcc, s12, v10
	v_addc_co_u32_e32 v13, vcc, v6, v11, vcc
	global_load_dwordx2 v[12:13], v[12:13], off
	v_add_u32_e32 v8, s16, v8
	v_cmp_le_i32_e32 vcc, s3, v8
	v_add_co_u32_e64 v10, s[0:1], s8, v10
	v_addc_co_u32_e64 v11, s[0:1], v7, v11, s[0:1]
	s_or_b64 s[4:5], vcc, s[4:5]
	v_add_u32_e32 v0, s2, v0
	s_waitcnt vmcnt(0)
	v_mul_f64 v[12:13], v[2:3], v[12:13]
	s_waitcnt lgkmcnt(0)
	v_mul_f64 v[12:13], v[4:5], v[12:13]
	global_store_dwordx2 v[10:11], v[12:13], off
	s_andn2_b64 exec, exec, s[4:5]
	s_cbranch_execnz .LBB4_19
.LBB4_20:
	s_endpgm
.LBB4_21:                               ;   in Loop: Header=BB4_22 Depth=1
	s_or_b64 exec, exec, s[0:1]
	s_lshr_b32 s0, s19, 1
	s_cmpk_lt_u32 s19, 0x80
	s_mov_b32 s19, s0
	s_waitcnt lgkmcnt(0)
	s_barrier
	s_cbranch_scc1 .LBB4_7
.LBB4_22:                               ; =>This Inner Loop Header: Depth=1
	v_cmp_gt_i32_e32 vcc, s19, v3
	s_and_saveexec_b64 s[0:1], vcc
	s_cbranch_execz .LBB4_21
; %bb.23:                               ;   in Loop: Header=BB4_22 Depth=1
	v_lshl_add_u32 v10, s19, 3, v1
	ds_read_b64 v[6:7], v1
	ds_read_b64 v[10:11], v10
	s_waitcnt lgkmcnt(0)
	v_add_f64 v[6:7], v[6:7], v[10:11]
	ds_write_b64 v1, v[6:7]
	s_branch .LBB4_21
	.section	.rodata,"a",@progbits
	.p2align	6, 0x0
	.amdhsa_kernel _ZN2at6native12_GLOBAL__N_131weight_norm_fwd_last_dim_kernelIddEEvPT_PT0_PKS3_S8_ii
		.amdhsa_group_segment_fixed_size 0
		.amdhsa_private_segment_fixed_size 0
		.amdhsa_kernarg_size 296
		.amdhsa_user_sgpr_count 6
		.amdhsa_user_sgpr_private_segment_buffer 1
		.amdhsa_user_sgpr_dispatch_ptr 0
		.amdhsa_user_sgpr_queue_ptr 0
		.amdhsa_user_sgpr_kernarg_segment_ptr 1
		.amdhsa_user_sgpr_dispatch_id 0
		.amdhsa_user_sgpr_flat_scratch_init 0
		.amdhsa_user_sgpr_kernarg_preload_length 0
		.amdhsa_user_sgpr_kernarg_preload_offset 0
		.amdhsa_user_sgpr_private_segment_size 0
		.amdhsa_uses_dynamic_stack 0
		.amdhsa_system_sgpr_private_segment_wavefront_offset 0
		.amdhsa_system_sgpr_workgroup_id_x 1
		.amdhsa_system_sgpr_workgroup_id_y 0
		.amdhsa_system_sgpr_workgroup_id_z 0
		.amdhsa_system_sgpr_workgroup_info 0
		.amdhsa_system_vgpr_workitem_id 1
		.amdhsa_next_free_vgpr 16
		.amdhsa_next_free_sgpr 20
		.amdhsa_accum_offset 16
		.amdhsa_reserve_vcc 1
		.amdhsa_reserve_flat_scratch 0
		.amdhsa_float_round_mode_32 0
		.amdhsa_float_round_mode_16_64 0
		.amdhsa_float_denorm_mode_32 3
		.amdhsa_float_denorm_mode_16_64 3
		.amdhsa_dx10_clamp 1
		.amdhsa_ieee_mode 1
		.amdhsa_fp16_overflow 0
		.amdhsa_tg_split 0
		.amdhsa_exception_fp_ieee_invalid_op 0
		.amdhsa_exception_fp_denorm_src 0
		.amdhsa_exception_fp_ieee_div_zero 0
		.amdhsa_exception_fp_ieee_overflow 0
		.amdhsa_exception_fp_ieee_underflow 0
		.amdhsa_exception_fp_ieee_inexact 0
		.amdhsa_exception_int_div_zero 0
	.end_amdhsa_kernel
	.section	.text._ZN2at6native12_GLOBAL__N_131weight_norm_fwd_last_dim_kernelIddEEvPT_PT0_PKS3_S8_ii,"axG",@progbits,_ZN2at6native12_GLOBAL__N_131weight_norm_fwd_last_dim_kernelIddEEvPT_PT0_PKS3_S8_ii,comdat
.Lfunc_end4:
	.size	_ZN2at6native12_GLOBAL__N_131weight_norm_fwd_last_dim_kernelIddEEvPT_PT0_PKS3_S8_ii, .Lfunc_end4-_ZN2at6native12_GLOBAL__N_131weight_norm_fwd_last_dim_kernelIddEEvPT_PT0_PKS3_S8_ii
                                        ; -- End function
	.section	.AMDGPU.csdata,"",@progbits
; Kernel info:
; codeLenInByte = 996
; NumSgprs: 24
; NumVgprs: 16
; NumAgprs: 0
; TotalNumVgprs: 16
; ScratchSize: 0
; MemoryBound: 0
; FloatMode: 240
; IeeeMode: 1
; LDSByteSize: 0 bytes/workgroup (compile time only)
; SGPRBlocks: 2
; VGPRBlocks: 1
; NumSGPRsForWavesPerEU: 24
; NumVGPRsForWavesPerEU: 16
; AccumOffset: 16
; Occupancy: 8
; WaveLimiterHint : 0
; COMPUTE_PGM_RSRC2:SCRATCH_EN: 0
; COMPUTE_PGM_RSRC2:USER_SGPR: 6
; COMPUTE_PGM_RSRC2:TRAP_HANDLER: 0
; COMPUTE_PGM_RSRC2:TGID_X_EN: 1
; COMPUTE_PGM_RSRC2:TGID_Y_EN: 0
; COMPUTE_PGM_RSRC2:TGID_Z_EN: 0
; COMPUTE_PGM_RSRC2:TIDIG_COMP_CNT: 1
; COMPUTE_PGM_RSRC3_GFX90A:ACCUM_OFFSET: 3
; COMPUTE_PGM_RSRC3_GFX90A:TG_SPLIT: 0
	.section	.text._ZN2at6native12_GLOBAL__N_131weight_norm_fwd_last_dim_kernelIffEEvPT_PT0_PKS3_S8_ii,"axG",@progbits,_ZN2at6native12_GLOBAL__N_131weight_norm_fwd_last_dim_kernelIffEEvPT_PT0_PKS3_S8_ii,comdat
	.globl	_ZN2at6native12_GLOBAL__N_131weight_norm_fwd_last_dim_kernelIffEEvPT_PT0_PKS3_S8_ii ; -- Begin function _ZN2at6native12_GLOBAL__N_131weight_norm_fwd_last_dim_kernelIffEEvPT_PT0_PKS3_S8_ii
	.p2align	8
	.type	_ZN2at6native12_GLOBAL__N_131weight_norm_fwd_last_dim_kernelIffEEvPT_PT0_PKS3_S8_ii,@function
_ZN2at6native12_GLOBAL__N_131weight_norm_fwd_last_dim_kernelIffEEvPT_PT0_PKS3_S8_ii: ; @_ZN2at6native12_GLOBAL__N_131weight_norm_fwd_last_dim_kernelIffEEvPT_PT0_PKS3_S8_ii
; %bb.0:
	s_load_dword s0, s[4:5], 0x34
	s_load_dwordx2 s[2:3], s[4:5], 0x20
	s_load_dwordx8 s[8:15], s[4:5], 0x0
	v_and_b32_e32 v7, 0x3ff, v0
	v_bfe_u32 v6, v0, 10, 10
	s_waitcnt lgkmcnt(0)
	s_and_b32 s17, s0, 0xffff
	s_mul_i32 s6, s6, s17
	v_add_u32_e32 v2, s6, v7
	s_lshr_b32 s16, s0, 16
	v_mad_u64_u32 v[0:1], s[0:1], v6, s2, v[2:3]
	v_cmp_gt_i32_e32 vcc, s2, v2
	v_cmp_gt_i32_e64 s[0:1], s3, v6
	s_and_b64 s[4:5], vcc, s[0:1]
	v_mov_b32_e32 v1, 0
	s_mul_i32 s2, s16, s2
	s_and_saveexec_b64 s[0:1], s[4:5]
	s_cbranch_execz .LBB5_4
; %bb.1:
	s_mov_b64 s[6:7], 0
	v_mov_b32_e32 v1, 0
	v_mov_b32_e32 v3, s13
	;; [unrolled: 1-line block ×4, first 2 shown]
.LBB5_2:                                ; =>This Inner Loop Header: Depth=1
	v_ashrrev_i32_e32 v5, 31, v4
	v_lshlrev_b64 v[10:11], 2, v[4:5]
	v_add_co_u32_e32 v10, vcc, s12, v10
	v_addc_co_u32_e32 v11, vcc, v3, v11, vcc
	global_load_dword v5, v[10:11], off
	v_add_u32_e32 v8, s16, v8
	v_cmp_le_i32_e32 vcc, s3, v8
	s_or_b64 s[6:7], vcc, s[6:7]
	v_add_u32_e32 v4, s2, v4
	s_waitcnt vmcnt(0)
	v_fmac_f32_e32 v1, v5, v5
	s_andn2_b64 exec, exec, s[6:7]
	s_cbranch_execnz .LBB5_2
; %bb.3:
	s_or_b64 exec, exec, s[6:7]
.LBB5_4:
	s_or_b64 exec, exec, s[0:1]
	s_mul_i32 s18, s16, s17
	v_mad_u32_u24 v4, v6, s17, v7
	s_cmp_gt_i32 s18, 63
	s_cselect_b64 s[6:7], -1, 0
	s_cmp_lt_i32 s18, 64
	v_lshl_add_u32 v3, v4, 2, 0
	s_cbranch_scc1 .LBB5_6
; %bb.5:
	ds_write_b32 v3, v1
	s_waitcnt lgkmcnt(0)
	s_barrier
.LBB5_6:
	s_ashr_i32 s19, s18, 1
	s_cmp_lt_i32 s19, 64
	s_cbranch_scc0 .LBB5_22
.LBB5_7:
	v_cmp_gt_u32_e32 vcc, 32, v4
	s_and_saveexec_b64 s[0:1], vcc
	s_cbranch_execz .LBB5_15
; %bb.8:
	s_andn2_b64 vcc, exec, s[6:7]
	s_cbranch_vccnz .LBB5_10
; %bb.9:
	ds_read2_b32 v[8:9], v3 offset1:32
	s_waitcnt lgkmcnt(0)
	v_add_f32_e32 v1, v8, v9
.LBB5_10:
	s_cmp_gt_u32 s17, 16
	s_mov_b32 s6, 16
	s_cbranch_scc1 .LBB5_13
; %bb.11:
	v_mbcnt_lo_u32_b32 v5, -1, 0
	v_mbcnt_hi_u32_b32 v5, -1, v5
	v_and_b32_e32 v8, 63, v5
.LBB5_12:                               ; =>This Inner Loop Header: Depth=1
	v_add_u32_e32 v9, s6, v8
	v_mov_b32_e32 v10, s6
	v_cmp_gt_u32_e32 vcc, 64, v9
	v_cndmask_b32_e32 v9, 0, v10, vcc
	v_add_lshl_u32 v9, v9, v5, 2
	ds_bpermute_b32 v9, v9, v1
	s_lshr_b32 s6, s6, 1
	s_cmp_lt_u32 s6, s17
	s_waitcnt lgkmcnt(0)
	v_add_f32_e32 v1, v1, v9
	s_cbranch_scc0 .LBB5_12
.LBB5_13:
	v_cmp_gt_u32_e32 vcc, s17, v4
	s_and_b64 exec, exec, vcc
	s_cbranch_execz .LBB5_15
; %bb.14:
	ds_write_b32 v3, v1
.LBB5_15:
	s_or_b64 exec, exec, s[0:1]
	s_lshl_b32 s17, s18, 2
	v_cmp_ne_u32_e32 vcc, 0, v6
	v_ashrrev_i32_e32 v3, 31, v2
	s_waitcnt lgkmcnt(0)
	s_barrier
	s_and_saveexec_b64 s[0:1], vcc
	s_xor_b64 s[0:1], exec, s[0:1]
	s_or_saveexec_b64 s[6:7], s[0:1]
	s_add_i32 s17, s17, 0
	s_xor_b64 exec, exec, s[6:7]
	s_cbranch_execz .LBB5_17
; %bb.16:
	v_lshlrev_b32_e32 v1, 2, v7
	v_add_u32_e32 v4, 0, v1
	ds_read_b32 v4, v4
	s_mov_b32 s0, 0xf800000
	v_mov_b32_e32 v8, 0x260
	v_add_u32_e32 v1, s17, v1
	s_waitcnt lgkmcnt(0)
	v_mul_f32_e32 v5, 0x4f800000, v4
	v_cmp_gt_f32_e32 vcc, s0, v4
	v_cndmask_b32_e32 v4, v4, v5, vcc
	v_sqrt_f32_e32 v5, v4
	v_add_u32_e32 v9, -1, v5
	v_add_u32_e32 v10, 1, v5
	v_fma_f32 v11, -v9, v5, v4
	v_fma_f32 v12, -v10, v5, v4
	v_cmp_ge_f32_e64 s[0:1], 0, v11
	v_cndmask_b32_e64 v5, v5, v9, s[0:1]
	v_cmp_lt_f32_e64 s[0:1], 0, v12
	v_cndmask_b32_e64 v5, v5, v10, s[0:1]
	v_mul_f32_e32 v9, 0x37800000, v5
	v_cndmask_b32_e32 v5, v5, v9, vcc
	v_cmp_class_f32_e32 vcc, v4, v8
	v_cndmask_b32_e32 v8, v5, v4, vcc
	v_div_scale_f32 v10, s[0:1], v8, v8, 1.0
	v_rcp_f32_e32 v11, v10
	v_lshlrev_b64 v[4:5], 2, v[2:3]
	v_mov_b32_e32 v9, s11
	v_add_co_u32_e32 v4, vcc, s10, v4
	v_addc_co_u32_e32 v5, vcc, v9, v5, vcc
	global_store_dword v[4:5], v8, off
	v_fma_f32 v4, -v10, v11, 1.0
	v_fmac_f32_e32 v11, v4, v11
	v_div_scale_f32 v4, vcc, 1.0, v8, 1.0
	v_mul_f32_e32 v5, v4, v11
	v_fma_f32 v9, -v10, v5, v4
	v_fmac_f32_e32 v5, v9, v11
	v_fma_f32 v4, -v10, v5, v4
	v_div_fmas_f32 v4, v4, v11, v5
	v_div_fixup_f32 v4, v4, v8, 1.0
	ds_write_b32 v1, v4
.LBB5_17:
	s_or_b64 exec, exec, s[6:7]
	s_waitcnt lgkmcnt(0)
	s_barrier
	s_and_saveexec_b64 s[0:1], s[4:5]
	s_cbranch_execz .LBB5_20
; %bb.18:
	v_lshlrev_b64 v[2:3], 2, v[2:3]
	v_mov_b32_e32 v1, s15
	v_add_co_u32_e32 v2, vcc, s14, v2
	v_addc_co_u32_e32 v3, vcc, v1, v3, vcc
	global_load_dword v2, v[2:3], off
	v_lshl_add_u32 v1, v7, 2, s17
	ds_read_b32 v3, v1
	s_mov_b64 s[4:5], 0
	v_mov_b32_e32 v4, s13
	v_mov_b32_e32 v5, s9
.LBB5_19:                               ; =>This Inner Loop Header: Depth=1
	v_ashrrev_i32_e32 v1, 31, v0
	v_lshlrev_b64 v[8:9], 2, v[0:1]
	v_add_co_u32_e32 v10, vcc, s12, v8
	v_addc_co_u32_e32 v11, vcc, v4, v9, vcc
	global_load_dword v1, v[10:11], off
	v_add_u32_e32 v6, s16, v6
	v_cmp_le_i32_e32 vcc, s3, v6
	v_add_co_u32_e64 v8, s[0:1], s8, v8
	v_addc_co_u32_e64 v9, s[0:1], v5, v9, s[0:1]
	s_or_b64 s[4:5], vcc, s[4:5]
	v_add_u32_e32 v0, s2, v0
	s_waitcnt vmcnt(0)
	v_mul_f32_e32 v1, v2, v1
	s_waitcnt lgkmcnt(0)
	v_mul_f32_e32 v1, v3, v1
	global_store_dword v[8:9], v1, off
	s_andn2_b64 exec, exec, s[4:5]
	s_cbranch_execnz .LBB5_19
.LBB5_20:
	s_endpgm
.LBB5_21:                               ;   in Loop: Header=BB5_22 Depth=1
	s_or_b64 exec, exec, s[0:1]
	s_lshr_b32 s0, s19, 1
	s_cmpk_lt_u32 s19, 0x80
	s_mov_b32 s19, s0
	s_waitcnt lgkmcnt(0)
	s_barrier
	s_cbranch_scc1 .LBB5_7
.LBB5_22:                               ; =>This Inner Loop Header: Depth=1
	v_cmp_gt_i32_e32 vcc, s19, v4
	s_and_saveexec_b64 s[0:1], vcc
	s_cbranch_execz .LBB5_21
; %bb.23:                               ;   in Loop: Header=BB5_22 Depth=1
	v_lshl_add_u32 v5, s19, 2, v3
	ds_read_b32 v8, v3
	ds_read_b32 v5, v5
	s_waitcnt lgkmcnt(0)
	v_add_f32_e32 v5, v8, v5
	ds_write_b32 v3, v5
	s_branch .LBB5_21
	.section	.rodata,"a",@progbits
	.p2align	6, 0x0
	.amdhsa_kernel _ZN2at6native12_GLOBAL__N_131weight_norm_fwd_last_dim_kernelIffEEvPT_PT0_PKS3_S8_ii
		.amdhsa_group_segment_fixed_size 0
		.amdhsa_private_segment_fixed_size 0
		.amdhsa_kernarg_size 296
		.amdhsa_user_sgpr_count 6
		.amdhsa_user_sgpr_private_segment_buffer 1
		.amdhsa_user_sgpr_dispatch_ptr 0
		.amdhsa_user_sgpr_queue_ptr 0
		.amdhsa_user_sgpr_kernarg_segment_ptr 1
		.amdhsa_user_sgpr_dispatch_id 0
		.amdhsa_user_sgpr_flat_scratch_init 0
		.amdhsa_user_sgpr_kernarg_preload_length 0
		.amdhsa_user_sgpr_kernarg_preload_offset 0
		.amdhsa_user_sgpr_private_segment_size 0
		.amdhsa_uses_dynamic_stack 0
		.amdhsa_system_sgpr_private_segment_wavefront_offset 0
		.amdhsa_system_sgpr_workgroup_id_x 1
		.amdhsa_system_sgpr_workgroup_id_y 0
		.amdhsa_system_sgpr_workgroup_id_z 0
		.amdhsa_system_sgpr_workgroup_info 0
		.amdhsa_system_vgpr_workitem_id 1
		.amdhsa_next_free_vgpr 13
		.amdhsa_next_free_sgpr 20
		.amdhsa_accum_offset 16
		.amdhsa_reserve_vcc 1
		.amdhsa_reserve_flat_scratch 0
		.amdhsa_float_round_mode_32 0
		.amdhsa_float_round_mode_16_64 0
		.amdhsa_float_denorm_mode_32 3
		.amdhsa_float_denorm_mode_16_64 3
		.amdhsa_dx10_clamp 1
		.amdhsa_ieee_mode 1
		.amdhsa_fp16_overflow 0
		.amdhsa_tg_split 0
		.amdhsa_exception_fp_ieee_invalid_op 0
		.amdhsa_exception_fp_denorm_src 0
		.amdhsa_exception_fp_ieee_div_zero 0
		.amdhsa_exception_fp_ieee_overflow 0
		.amdhsa_exception_fp_ieee_underflow 0
		.amdhsa_exception_fp_ieee_inexact 0
		.amdhsa_exception_int_div_zero 0
	.end_amdhsa_kernel
	.section	.text._ZN2at6native12_GLOBAL__N_131weight_norm_fwd_last_dim_kernelIffEEvPT_PT0_PKS3_S8_ii,"axG",@progbits,_ZN2at6native12_GLOBAL__N_131weight_norm_fwd_last_dim_kernelIffEEvPT_PT0_PKS3_S8_ii,comdat
.Lfunc_end5:
	.size	_ZN2at6native12_GLOBAL__N_131weight_norm_fwd_last_dim_kernelIffEEvPT_PT0_PKS3_S8_ii, .Lfunc_end5-_ZN2at6native12_GLOBAL__N_131weight_norm_fwd_last_dim_kernelIffEEvPT_PT0_PKS3_S8_ii
                                        ; -- End function
	.section	.AMDGPU.csdata,"",@progbits
; Kernel info:
; codeLenInByte = 944
; NumSgprs: 24
; NumVgprs: 13
; NumAgprs: 0
; TotalNumVgprs: 13
; ScratchSize: 0
; MemoryBound: 0
; FloatMode: 240
; IeeeMode: 1
; LDSByteSize: 0 bytes/workgroup (compile time only)
; SGPRBlocks: 2
; VGPRBlocks: 1
; NumSGPRsForWavesPerEU: 24
; NumVGPRsForWavesPerEU: 13
; AccumOffset: 16
; Occupancy: 8
; WaveLimiterHint : 0
; COMPUTE_PGM_RSRC2:SCRATCH_EN: 0
; COMPUTE_PGM_RSRC2:USER_SGPR: 6
; COMPUTE_PGM_RSRC2:TRAP_HANDLER: 0
; COMPUTE_PGM_RSRC2:TGID_X_EN: 1
; COMPUTE_PGM_RSRC2:TGID_Y_EN: 0
; COMPUTE_PGM_RSRC2:TGID_Z_EN: 0
; COMPUTE_PGM_RSRC2:TIDIG_COMP_CNT: 1
; COMPUTE_PGM_RSRC3_GFX90A:ACCUM_OFFSET: 3
; COMPUTE_PGM_RSRC3_GFX90A:TG_SPLIT: 0
	.section	.text._ZN2at6native12_GLOBAL__N_131weight_norm_fwd_last_dim_kernelIN3c108BFloat16EfEEvPT_PT0_PKS5_SA_ii,"axG",@progbits,_ZN2at6native12_GLOBAL__N_131weight_norm_fwd_last_dim_kernelIN3c108BFloat16EfEEvPT_PT0_PKS5_SA_ii,comdat
	.globl	_ZN2at6native12_GLOBAL__N_131weight_norm_fwd_last_dim_kernelIN3c108BFloat16EfEEvPT_PT0_PKS5_SA_ii ; -- Begin function _ZN2at6native12_GLOBAL__N_131weight_norm_fwd_last_dim_kernelIN3c108BFloat16EfEEvPT_PT0_PKS5_SA_ii
	.p2align	8
	.type	_ZN2at6native12_GLOBAL__N_131weight_norm_fwd_last_dim_kernelIN3c108BFloat16EfEEvPT_PT0_PKS5_SA_ii,@function
_ZN2at6native12_GLOBAL__N_131weight_norm_fwd_last_dim_kernelIN3c108BFloat16EfEEvPT_PT0_PKS5_SA_ii: ; @_ZN2at6native12_GLOBAL__N_131weight_norm_fwd_last_dim_kernelIN3c108BFloat16EfEEvPT_PT0_PKS5_SA_ii
; %bb.0:
	s_load_dword s0, s[4:5], 0x34
	s_load_dwordx2 s[2:3], s[4:5], 0x20
	s_load_dwordx8 s[8:15], s[4:5], 0x0
	v_and_b32_e32 v7, 0x3ff, v0
	v_bfe_u32 v6, v0, 10, 10
	s_waitcnt lgkmcnt(0)
	s_and_b32 s17, s0, 0xffff
	s_mul_i32 s6, s6, s17
	v_add_u32_e32 v2, s6, v7
	s_lshr_b32 s16, s0, 16
	v_mad_u64_u32 v[0:1], s[0:1], v6, s2, v[2:3]
	v_cmp_gt_i32_e32 vcc, s2, v2
	v_cmp_gt_i32_e64 s[0:1], s3, v6
	s_and_b64 s[4:5], vcc, s[0:1]
	v_mov_b32_e32 v1, 0
	s_mul_i32 s2, s16, s2
	s_and_saveexec_b64 s[0:1], s[4:5]
	s_cbranch_execz .LBB6_4
; %bb.1:
	s_mov_b64 s[6:7], 0
	v_mov_b32_e32 v1, 0
	v_mov_b32_e32 v3, s13
	;; [unrolled: 1-line block ×4, first 2 shown]
.LBB6_2:                                ; =>This Inner Loop Header: Depth=1
	v_ashrrev_i32_e32 v5, 31, v4
	v_lshlrev_b64 v[10:11], 1, v[4:5]
	v_add_co_u32_e32 v10, vcc, s12, v10
	v_addc_co_u32_e32 v11, vcc, v3, v11, vcc
	global_load_ushort v5, v[10:11], off
	v_add_u32_e32 v8, s16, v8
	v_cmp_le_i32_e32 vcc, s3, v8
	s_or_b64 s[6:7], vcc, s[6:7]
	v_add_u32_e32 v4, s2, v4
	s_waitcnt vmcnt(0)
	v_lshlrev_b32_e32 v5, 16, v5
	v_fmac_f32_e32 v1, v5, v5
	s_andn2_b64 exec, exec, s[6:7]
	s_cbranch_execnz .LBB6_2
; %bb.3:
	s_or_b64 exec, exec, s[6:7]
.LBB6_4:
	s_or_b64 exec, exec, s[0:1]
	s_mul_i32 s18, s16, s17
	v_mad_u32_u24 v4, v6, s17, v7
	s_cmp_gt_i32 s18, 63
	s_cselect_b64 s[6:7], -1, 0
	s_cmp_lt_i32 s18, 64
	v_lshl_add_u32 v3, v4, 2, 0
	s_cbranch_scc1 .LBB6_6
; %bb.5:
	ds_write_b32 v3, v1
	s_waitcnt lgkmcnt(0)
	s_barrier
.LBB6_6:
	s_ashr_i32 s19, s18, 1
	s_cmp_lt_i32 s19, 64
	s_cbranch_scc0 .LBB6_22
.LBB6_7:
	v_cmp_gt_u32_e32 vcc, 32, v4
	s_and_saveexec_b64 s[0:1], vcc
	s_cbranch_execz .LBB6_15
; %bb.8:
	s_andn2_b64 vcc, exec, s[6:7]
	s_cbranch_vccnz .LBB6_10
; %bb.9:
	ds_read2_b32 v[8:9], v3 offset1:32
	s_waitcnt lgkmcnt(0)
	v_add_f32_e32 v1, v8, v9
.LBB6_10:
	s_cmp_gt_u32 s17, 16
	s_mov_b32 s6, 16
	s_cbranch_scc1 .LBB6_13
; %bb.11:
	v_mbcnt_lo_u32_b32 v5, -1, 0
	v_mbcnt_hi_u32_b32 v5, -1, v5
	v_and_b32_e32 v8, 63, v5
.LBB6_12:                               ; =>This Inner Loop Header: Depth=1
	v_add_u32_e32 v9, s6, v8
	v_mov_b32_e32 v10, s6
	v_cmp_gt_u32_e32 vcc, 64, v9
	v_cndmask_b32_e32 v9, 0, v10, vcc
	v_add_lshl_u32 v9, v9, v5, 2
	ds_bpermute_b32 v9, v9, v1
	s_lshr_b32 s6, s6, 1
	s_cmp_lt_u32 s6, s17
	s_waitcnt lgkmcnt(0)
	v_add_f32_e32 v1, v1, v9
	s_cbranch_scc0 .LBB6_12
.LBB6_13:
	v_cmp_gt_u32_e32 vcc, s17, v4
	s_and_b64 exec, exec, vcc
	s_cbranch_execz .LBB6_15
; %bb.14:
	ds_write_b32 v3, v1
.LBB6_15:
	s_or_b64 exec, exec, s[0:1]
	s_lshl_b32 s17, s18, 2
	v_cmp_ne_u32_e32 vcc, 0, v6
	v_ashrrev_i32_e32 v3, 31, v2
	s_waitcnt lgkmcnt(0)
	s_barrier
	s_and_saveexec_b64 s[0:1], vcc
	s_xor_b64 s[0:1], exec, s[0:1]
	s_or_saveexec_b64 s[6:7], s[0:1]
	s_add_i32 s17, s17, 0
	s_xor_b64 exec, exec, s[6:7]
	s_cbranch_execz .LBB6_17
; %bb.16:
	v_lshlrev_b32_e32 v1, 2, v7
	v_add_u32_e32 v4, 0, v1
	ds_read_b32 v4, v4
	s_mov_b32 s0, 0xf800000
	v_mov_b32_e32 v8, 0x260
	v_add_u32_e32 v1, s17, v1
	s_waitcnt lgkmcnt(0)
	v_mul_f32_e32 v5, 0x4f800000, v4
	v_cmp_gt_f32_e32 vcc, s0, v4
	v_cndmask_b32_e32 v4, v4, v5, vcc
	v_sqrt_f32_e32 v5, v4
	v_add_u32_e32 v9, -1, v5
	v_add_u32_e32 v10, 1, v5
	v_fma_f32 v11, -v9, v5, v4
	v_fma_f32 v12, -v10, v5, v4
	v_cmp_ge_f32_e64 s[0:1], 0, v11
	v_cndmask_b32_e64 v5, v5, v9, s[0:1]
	v_cmp_lt_f32_e64 s[0:1], 0, v12
	v_cndmask_b32_e64 v5, v5, v10, s[0:1]
	v_mul_f32_e32 v9, 0x37800000, v5
	v_cndmask_b32_e32 v5, v5, v9, vcc
	v_cmp_class_f32_e32 vcc, v4, v8
	v_cndmask_b32_e32 v8, v5, v4, vcc
	v_div_scale_f32 v10, s[0:1], v8, v8, 1.0
	v_rcp_f32_e32 v11, v10
	v_lshlrev_b64 v[4:5], 2, v[2:3]
	v_mov_b32_e32 v9, s11
	v_add_co_u32_e32 v4, vcc, s10, v4
	v_addc_co_u32_e32 v5, vcc, v9, v5, vcc
	global_store_dword v[4:5], v8, off
	v_fma_f32 v4, -v10, v11, 1.0
	v_fmac_f32_e32 v11, v4, v11
	v_div_scale_f32 v4, vcc, 1.0, v8, 1.0
	v_mul_f32_e32 v5, v4, v11
	v_fma_f32 v9, -v10, v5, v4
	v_fmac_f32_e32 v5, v9, v11
	v_fma_f32 v4, -v10, v5, v4
	v_div_fmas_f32 v4, v4, v11, v5
	v_div_fixup_f32 v4, v4, v8, 1.0
	ds_write_b32 v1, v4
.LBB6_17:
	s_or_b64 exec, exec, s[6:7]
	s_waitcnt lgkmcnt(0)
	s_barrier
	s_and_saveexec_b64 s[0:1], s[4:5]
	s_cbranch_execz .LBB6_20
; %bb.18:
	v_lshlrev_b64 v[2:3], 1, v[2:3]
	v_mov_b32_e32 v1, s15
	v_add_co_u32_e32 v2, vcc, s14, v2
	v_addc_co_u32_e32 v3, vcc, v1, v3, vcc
	global_load_ushort v1, v[2:3], off
	v_lshl_add_u32 v3, v7, 2, s17
	ds_read_b32 v3, v3
	s_mov_b64 s[4:5], 0
	v_mov_b32_e32 v2, s13
	s_movk_i32 s6, 0x7fff
	v_mov_b32_e32 v4, 0x7fc0
	v_mov_b32_e32 v7, s9
	s_waitcnt vmcnt(0)
	v_lshlrev_b32_e32 v5, 16, v1
.LBB6_19:                               ; =>This Inner Loop Header: Depth=1
	v_ashrrev_i32_e32 v1, 31, v0
	v_lshlrev_b64 v[8:9], 1, v[0:1]
	v_add_co_u32_e32 v10, vcc, s12, v8
	v_addc_co_u32_e32 v11, vcc, v2, v9, vcc
	global_load_ushort v1, v[10:11], off
	v_add_u32_e32 v6, s16, v6
	v_cmp_le_i32_e32 vcc, s3, v6
	v_add_co_u32_e64 v8, s[0:1], s8, v8
	s_or_b64 s[4:5], vcc, s[4:5]
	v_addc_co_u32_e64 v9, s[0:1], v7, v9, s[0:1]
	v_add_u32_e32 v0, s2, v0
	s_waitcnt vmcnt(0)
	v_lshlrev_b32_e32 v1, 16, v1
	v_mul_f32_e32 v1, v5, v1
	s_waitcnt lgkmcnt(0)
	v_mul_f32_e32 v1, v3, v1
	v_bfe_u32 v10, v1, 16, 1
	v_add3_u32 v10, v1, v10, s6
	v_lshrrev_b32_e32 v10, 16, v10
	v_cmp_o_f32_e32 vcc, v1, v1
	v_cndmask_b32_e32 v1, v4, v10, vcc
	global_store_short v[8:9], v1, off
	s_andn2_b64 exec, exec, s[4:5]
	s_cbranch_execnz .LBB6_19
.LBB6_20:
	s_endpgm
.LBB6_21:                               ;   in Loop: Header=BB6_22 Depth=1
	s_or_b64 exec, exec, s[0:1]
	s_lshr_b32 s0, s19, 1
	s_cmpk_lt_u32 s19, 0x80
	s_mov_b32 s19, s0
	s_waitcnt lgkmcnt(0)
	s_barrier
	s_cbranch_scc1 .LBB6_7
.LBB6_22:                               ; =>This Inner Loop Header: Depth=1
	v_cmp_gt_i32_e32 vcc, s19, v4
	s_and_saveexec_b64 s[0:1], vcc
	s_cbranch_execz .LBB6_21
; %bb.23:                               ;   in Loop: Header=BB6_22 Depth=1
	v_lshl_add_u32 v5, s19, 2, v3
	ds_read_b32 v8, v3
	ds_read_b32 v5, v5
	s_waitcnt lgkmcnt(0)
	v_add_f32_e32 v5, v8, v5
	ds_write_b32 v3, v5
	s_branch .LBB6_21
	.section	.rodata,"a",@progbits
	.p2align	6, 0x0
	.amdhsa_kernel _ZN2at6native12_GLOBAL__N_131weight_norm_fwd_last_dim_kernelIN3c108BFloat16EfEEvPT_PT0_PKS5_SA_ii
		.amdhsa_group_segment_fixed_size 0
		.amdhsa_private_segment_fixed_size 0
		.amdhsa_kernarg_size 296
		.amdhsa_user_sgpr_count 6
		.amdhsa_user_sgpr_private_segment_buffer 1
		.amdhsa_user_sgpr_dispatch_ptr 0
		.amdhsa_user_sgpr_queue_ptr 0
		.amdhsa_user_sgpr_kernarg_segment_ptr 1
		.amdhsa_user_sgpr_dispatch_id 0
		.amdhsa_user_sgpr_flat_scratch_init 0
		.amdhsa_user_sgpr_kernarg_preload_length 0
		.amdhsa_user_sgpr_kernarg_preload_offset 0
		.amdhsa_user_sgpr_private_segment_size 0
		.amdhsa_uses_dynamic_stack 0
		.amdhsa_system_sgpr_private_segment_wavefront_offset 0
		.amdhsa_system_sgpr_workgroup_id_x 1
		.amdhsa_system_sgpr_workgroup_id_y 0
		.amdhsa_system_sgpr_workgroup_id_z 0
		.amdhsa_system_sgpr_workgroup_info 0
		.amdhsa_system_vgpr_workitem_id 1
		.amdhsa_next_free_vgpr 13
		.amdhsa_next_free_sgpr 20
		.amdhsa_accum_offset 16
		.amdhsa_reserve_vcc 1
		.amdhsa_reserve_flat_scratch 0
		.amdhsa_float_round_mode_32 0
		.amdhsa_float_round_mode_16_64 0
		.amdhsa_float_denorm_mode_32 3
		.amdhsa_float_denorm_mode_16_64 3
		.amdhsa_dx10_clamp 1
		.amdhsa_ieee_mode 1
		.amdhsa_fp16_overflow 0
		.amdhsa_tg_split 0
		.amdhsa_exception_fp_ieee_invalid_op 0
		.amdhsa_exception_fp_denorm_src 0
		.amdhsa_exception_fp_ieee_div_zero 0
		.amdhsa_exception_fp_ieee_overflow 0
		.amdhsa_exception_fp_ieee_underflow 0
		.amdhsa_exception_fp_ieee_inexact 0
		.amdhsa_exception_int_div_zero 0
	.end_amdhsa_kernel
	.section	.text._ZN2at6native12_GLOBAL__N_131weight_norm_fwd_last_dim_kernelIN3c108BFloat16EfEEvPT_PT0_PKS5_SA_ii,"axG",@progbits,_ZN2at6native12_GLOBAL__N_131weight_norm_fwd_last_dim_kernelIN3c108BFloat16EfEEvPT_PT0_PKS5_SA_ii,comdat
.Lfunc_end6:
	.size	_ZN2at6native12_GLOBAL__N_131weight_norm_fwd_last_dim_kernelIN3c108BFloat16EfEEvPT_PT0_PKS5_SA_ii, .Lfunc_end6-_ZN2at6native12_GLOBAL__N_131weight_norm_fwd_last_dim_kernelIN3c108BFloat16EfEEvPT_PT0_PKS5_SA_ii
                                        ; -- End function
	.section	.AMDGPU.csdata,"",@progbits
; Kernel info:
; codeLenInByte = 1000
; NumSgprs: 24
; NumVgprs: 13
; NumAgprs: 0
; TotalNumVgprs: 13
; ScratchSize: 0
; MemoryBound: 0
; FloatMode: 240
; IeeeMode: 1
; LDSByteSize: 0 bytes/workgroup (compile time only)
; SGPRBlocks: 2
; VGPRBlocks: 1
; NumSGPRsForWavesPerEU: 24
; NumVGPRsForWavesPerEU: 13
; AccumOffset: 16
; Occupancy: 8
; WaveLimiterHint : 0
; COMPUTE_PGM_RSRC2:SCRATCH_EN: 0
; COMPUTE_PGM_RSRC2:USER_SGPR: 6
; COMPUTE_PGM_RSRC2:TRAP_HANDLER: 0
; COMPUTE_PGM_RSRC2:TGID_X_EN: 1
; COMPUTE_PGM_RSRC2:TGID_Y_EN: 0
; COMPUTE_PGM_RSRC2:TGID_Z_EN: 0
; COMPUTE_PGM_RSRC2:TIDIG_COMP_CNT: 1
; COMPUTE_PGM_RSRC3_GFX90A:ACCUM_OFFSET: 3
; COMPUTE_PGM_RSRC3_GFX90A:TG_SPLIT: 0
	.section	.text._ZN2at6native12_GLOBAL__N_131weight_norm_fwd_last_dim_kernelIN3c104HalfEfEEvPT_PT0_PKS5_SA_ii,"axG",@progbits,_ZN2at6native12_GLOBAL__N_131weight_norm_fwd_last_dim_kernelIN3c104HalfEfEEvPT_PT0_PKS5_SA_ii,comdat
	.globl	_ZN2at6native12_GLOBAL__N_131weight_norm_fwd_last_dim_kernelIN3c104HalfEfEEvPT_PT0_PKS5_SA_ii ; -- Begin function _ZN2at6native12_GLOBAL__N_131weight_norm_fwd_last_dim_kernelIN3c104HalfEfEEvPT_PT0_PKS5_SA_ii
	.p2align	8
	.type	_ZN2at6native12_GLOBAL__N_131weight_norm_fwd_last_dim_kernelIN3c104HalfEfEEvPT_PT0_PKS5_SA_ii,@function
_ZN2at6native12_GLOBAL__N_131weight_norm_fwd_last_dim_kernelIN3c104HalfEfEEvPT_PT0_PKS5_SA_ii: ; @_ZN2at6native12_GLOBAL__N_131weight_norm_fwd_last_dim_kernelIN3c104HalfEfEEvPT_PT0_PKS5_SA_ii
; %bb.0:
	s_load_dword s0, s[4:5], 0x34
	s_load_dwordx2 s[2:3], s[4:5], 0x20
	s_load_dwordx8 s[8:15], s[4:5], 0x0
	v_and_b32_e32 v7, 0x3ff, v0
	v_bfe_u32 v6, v0, 10, 10
	s_waitcnt lgkmcnt(0)
	s_and_b32 s17, s0, 0xffff
	s_mul_i32 s6, s6, s17
	v_add_u32_e32 v2, s6, v7
	s_lshr_b32 s16, s0, 16
	v_mad_u64_u32 v[0:1], s[0:1], v6, s2, v[2:3]
	v_cmp_gt_i32_e32 vcc, s2, v2
	v_cmp_gt_i32_e64 s[0:1], s3, v6
	s_and_b64 s[4:5], vcc, s[0:1]
	v_mov_b32_e32 v1, 0
	s_mul_i32 s2, s16, s2
	s_and_saveexec_b64 s[0:1], s[4:5]
	s_cbranch_execz .LBB7_4
; %bb.1:
	s_mov_b64 s[6:7], 0
	v_mov_b32_e32 v1, 0
	v_mov_b32_e32 v3, s13
	;; [unrolled: 1-line block ×4, first 2 shown]
.LBB7_2:                                ; =>This Inner Loop Header: Depth=1
	v_ashrrev_i32_e32 v5, 31, v4
	v_lshlrev_b64 v[10:11], 1, v[4:5]
	v_add_co_u32_e32 v10, vcc, s12, v10
	v_addc_co_u32_e32 v11, vcc, v3, v11, vcc
	global_load_ushort v5, v[10:11], off
	v_add_u32_e32 v8, s16, v8
	v_cmp_le_i32_e32 vcc, s3, v8
	s_or_b64 s[6:7], vcc, s[6:7]
	v_add_u32_e32 v4, s2, v4
	s_waitcnt vmcnt(0)
	v_fma_mix_f32 v1, v5, v5, v1 op_sel_hi:[1,1,0]
	s_andn2_b64 exec, exec, s[6:7]
	s_cbranch_execnz .LBB7_2
; %bb.3:
	s_or_b64 exec, exec, s[6:7]
.LBB7_4:
	s_or_b64 exec, exec, s[0:1]
	s_mul_i32 s18, s16, s17
	v_mad_u32_u24 v4, v6, s17, v7
	s_cmp_gt_i32 s18, 63
	s_cselect_b64 s[6:7], -1, 0
	s_cmp_lt_i32 s18, 64
	v_lshl_add_u32 v3, v4, 2, 0
	s_cbranch_scc1 .LBB7_6
; %bb.5:
	ds_write_b32 v3, v1
	s_waitcnt lgkmcnt(0)
	s_barrier
.LBB7_6:
	s_ashr_i32 s19, s18, 1
	s_cmp_lt_i32 s19, 64
	s_cbranch_scc0 .LBB7_22
.LBB7_7:
	v_cmp_gt_u32_e32 vcc, 32, v4
	s_and_saveexec_b64 s[0:1], vcc
	s_cbranch_execz .LBB7_15
; %bb.8:
	s_andn2_b64 vcc, exec, s[6:7]
	s_cbranch_vccnz .LBB7_10
; %bb.9:
	ds_read2_b32 v[8:9], v3 offset1:32
	s_waitcnt lgkmcnt(0)
	v_add_f32_e32 v1, v8, v9
.LBB7_10:
	s_cmp_gt_u32 s17, 16
	s_mov_b32 s6, 16
	s_cbranch_scc1 .LBB7_13
; %bb.11:
	v_mbcnt_lo_u32_b32 v5, -1, 0
	v_mbcnt_hi_u32_b32 v5, -1, v5
	v_and_b32_e32 v8, 63, v5
.LBB7_12:                               ; =>This Inner Loop Header: Depth=1
	v_add_u32_e32 v9, s6, v8
	v_mov_b32_e32 v10, s6
	v_cmp_gt_u32_e32 vcc, 64, v9
	v_cndmask_b32_e32 v9, 0, v10, vcc
	v_add_lshl_u32 v9, v9, v5, 2
	ds_bpermute_b32 v9, v9, v1
	s_lshr_b32 s6, s6, 1
	s_cmp_lt_u32 s6, s17
	s_waitcnt lgkmcnt(0)
	v_add_f32_e32 v1, v1, v9
	s_cbranch_scc0 .LBB7_12
.LBB7_13:
	v_cmp_gt_u32_e32 vcc, s17, v4
	s_and_b64 exec, exec, vcc
	s_cbranch_execz .LBB7_15
; %bb.14:
	ds_write_b32 v3, v1
.LBB7_15:
	s_or_b64 exec, exec, s[0:1]
	s_lshl_b32 s17, s18, 2
	v_cmp_ne_u32_e32 vcc, 0, v6
	v_ashrrev_i32_e32 v3, 31, v2
	s_waitcnt lgkmcnt(0)
	s_barrier
	s_and_saveexec_b64 s[0:1], vcc
	s_xor_b64 s[0:1], exec, s[0:1]
	s_or_saveexec_b64 s[6:7], s[0:1]
	s_add_i32 s17, s17, 0
	s_xor_b64 exec, exec, s[6:7]
	s_cbranch_execz .LBB7_17
; %bb.16:
	v_lshlrev_b32_e32 v1, 2, v7
	v_add_u32_e32 v4, 0, v1
	ds_read_b32 v4, v4
	s_mov_b32 s0, 0xf800000
	v_mov_b32_e32 v8, 0x260
	v_add_u32_e32 v1, s17, v1
	s_waitcnt lgkmcnt(0)
	v_mul_f32_e32 v5, 0x4f800000, v4
	v_cmp_gt_f32_e32 vcc, s0, v4
	v_cndmask_b32_e32 v4, v4, v5, vcc
	v_sqrt_f32_e32 v5, v4
	v_add_u32_e32 v9, -1, v5
	v_add_u32_e32 v10, 1, v5
	v_fma_f32 v11, -v9, v5, v4
	v_fma_f32 v12, -v10, v5, v4
	v_cmp_ge_f32_e64 s[0:1], 0, v11
	v_cndmask_b32_e64 v5, v5, v9, s[0:1]
	v_cmp_lt_f32_e64 s[0:1], 0, v12
	v_cndmask_b32_e64 v5, v5, v10, s[0:1]
	v_mul_f32_e32 v9, 0x37800000, v5
	v_cndmask_b32_e32 v5, v5, v9, vcc
	v_cmp_class_f32_e32 vcc, v4, v8
	v_cndmask_b32_e32 v8, v5, v4, vcc
	v_div_scale_f32 v10, s[0:1], v8, v8, 1.0
	v_rcp_f32_e32 v11, v10
	v_lshlrev_b64 v[4:5], 2, v[2:3]
	v_mov_b32_e32 v9, s11
	v_add_co_u32_e32 v4, vcc, s10, v4
	v_addc_co_u32_e32 v5, vcc, v9, v5, vcc
	global_store_dword v[4:5], v8, off
	v_fma_f32 v4, -v10, v11, 1.0
	v_fmac_f32_e32 v11, v4, v11
	v_div_scale_f32 v4, vcc, 1.0, v8, 1.0
	v_mul_f32_e32 v5, v4, v11
	v_fma_f32 v9, -v10, v5, v4
	v_fmac_f32_e32 v5, v9, v11
	v_fma_f32 v4, -v10, v5, v4
	v_div_fmas_f32 v4, v4, v11, v5
	v_div_fixup_f32 v4, v4, v8, 1.0
	ds_write_b32 v1, v4
.LBB7_17:
	s_or_b64 exec, exec, s[6:7]
	s_waitcnt lgkmcnt(0)
	s_barrier
	s_and_saveexec_b64 s[0:1], s[4:5]
	s_cbranch_execz .LBB7_20
; %bb.18:
	v_lshlrev_b64 v[2:3], 1, v[2:3]
	v_mov_b32_e32 v1, s15
	v_add_co_u32_e32 v2, vcc, s14, v2
	v_addc_co_u32_e32 v3, vcc, v1, v3, vcc
	global_load_ushort v1, v[2:3], off
	v_lshl_add_u32 v2, v7, 2, s17
	ds_read_b32 v2, v2
	s_mov_b64 s[4:5], 0
	v_mov_b32_e32 v4, s13
	v_mov_b32_e32 v5, s9
	s_waitcnt vmcnt(0)
	v_cvt_f32_f16_e32 v3, v1
.LBB7_19:                               ; =>This Inner Loop Header: Depth=1
	v_ashrrev_i32_e32 v1, 31, v0
	v_lshlrev_b64 v[8:9], 1, v[0:1]
	v_add_co_u32_e32 v10, vcc, s12, v8
	v_addc_co_u32_e32 v11, vcc, v4, v9, vcc
	global_load_ushort v1, v[10:11], off
	v_add_u32_e32 v6, s16, v6
	v_cmp_le_i32_e32 vcc, s3, v6
	v_add_co_u32_e64 v8, s[0:1], s8, v8
	v_addc_co_u32_e64 v9, s[0:1], v5, v9, s[0:1]
	s_or_b64 s[4:5], vcc, s[4:5]
	v_add_u32_e32 v0, s2, v0
	s_waitcnt vmcnt(0)
	v_cvt_f32_f16_e32 v1, v1
	v_mul_f32_e32 v1, v3, v1
	s_waitcnt lgkmcnt(0)
	v_fma_mixlo_f16 v1, v2, v1, 0
	global_store_short v[8:9], v1, off
	s_andn2_b64 exec, exec, s[4:5]
	s_cbranch_execnz .LBB7_19
.LBB7_20:
	s_endpgm
.LBB7_21:                               ;   in Loop: Header=BB7_22 Depth=1
	s_or_b64 exec, exec, s[0:1]
	s_lshr_b32 s0, s19, 1
	s_cmpk_lt_u32 s19, 0x80
	s_mov_b32 s19, s0
	s_waitcnt lgkmcnt(0)
	s_barrier
	s_cbranch_scc1 .LBB7_7
.LBB7_22:                               ; =>This Inner Loop Header: Depth=1
	v_cmp_gt_i32_e32 vcc, s19, v4
	s_and_saveexec_b64 s[0:1], vcc
	s_cbranch_execz .LBB7_21
; %bb.23:                               ;   in Loop: Header=BB7_22 Depth=1
	v_lshl_add_u32 v5, s19, 2, v3
	ds_read_b32 v8, v3
	ds_read_b32 v5, v5
	s_waitcnt lgkmcnt(0)
	v_add_f32_e32 v5, v8, v5
	ds_write_b32 v3, v5
	s_branch .LBB7_21
	.section	.rodata,"a",@progbits
	.p2align	6, 0x0
	.amdhsa_kernel _ZN2at6native12_GLOBAL__N_131weight_norm_fwd_last_dim_kernelIN3c104HalfEfEEvPT_PT0_PKS5_SA_ii
		.amdhsa_group_segment_fixed_size 0
		.amdhsa_private_segment_fixed_size 0
		.amdhsa_kernarg_size 296
		.amdhsa_user_sgpr_count 6
		.amdhsa_user_sgpr_private_segment_buffer 1
		.amdhsa_user_sgpr_dispatch_ptr 0
		.amdhsa_user_sgpr_queue_ptr 0
		.amdhsa_user_sgpr_kernarg_segment_ptr 1
		.amdhsa_user_sgpr_dispatch_id 0
		.amdhsa_user_sgpr_flat_scratch_init 0
		.amdhsa_user_sgpr_kernarg_preload_length 0
		.amdhsa_user_sgpr_kernarg_preload_offset 0
		.amdhsa_user_sgpr_private_segment_size 0
		.amdhsa_uses_dynamic_stack 0
		.amdhsa_system_sgpr_private_segment_wavefront_offset 0
		.amdhsa_system_sgpr_workgroup_id_x 1
		.amdhsa_system_sgpr_workgroup_id_y 0
		.amdhsa_system_sgpr_workgroup_id_z 0
		.amdhsa_system_sgpr_workgroup_info 0
		.amdhsa_system_vgpr_workitem_id 1
		.amdhsa_next_free_vgpr 13
		.amdhsa_next_free_sgpr 20
		.amdhsa_accum_offset 16
		.amdhsa_reserve_vcc 1
		.amdhsa_reserve_flat_scratch 0
		.amdhsa_float_round_mode_32 0
		.amdhsa_float_round_mode_16_64 0
		.amdhsa_float_denorm_mode_32 3
		.amdhsa_float_denorm_mode_16_64 3
		.amdhsa_dx10_clamp 1
		.amdhsa_ieee_mode 1
		.amdhsa_fp16_overflow 0
		.amdhsa_tg_split 0
		.amdhsa_exception_fp_ieee_invalid_op 0
		.amdhsa_exception_fp_denorm_src 0
		.amdhsa_exception_fp_ieee_div_zero 0
		.amdhsa_exception_fp_ieee_overflow 0
		.amdhsa_exception_fp_ieee_underflow 0
		.amdhsa_exception_fp_ieee_inexact 0
		.amdhsa_exception_int_div_zero 0
	.end_amdhsa_kernel
	.section	.text._ZN2at6native12_GLOBAL__N_131weight_norm_fwd_last_dim_kernelIN3c104HalfEfEEvPT_PT0_PKS5_SA_ii,"axG",@progbits,_ZN2at6native12_GLOBAL__N_131weight_norm_fwd_last_dim_kernelIN3c104HalfEfEEvPT_PT0_PKS5_SA_ii,comdat
.Lfunc_end7:
	.size	_ZN2at6native12_GLOBAL__N_131weight_norm_fwd_last_dim_kernelIN3c104HalfEfEEvPT_PT0_PKS5_SA_ii, .Lfunc_end7-_ZN2at6native12_GLOBAL__N_131weight_norm_fwd_last_dim_kernelIN3c104HalfEfEEvPT_PT0_PKS5_SA_ii
                                        ; -- End function
	.section	.AMDGPU.csdata,"",@progbits
; Kernel info:
; codeLenInByte = 964
; NumSgprs: 24
; NumVgprs: 13
; NumAgprs: 0
; TotalNumVgprs: 13
; ScratchSize: 0
; MemoryBound: 0
; FloatMode: 240
; IeeeMode: 1
; LDSByteSize: 0 bytes/workgroup (compile time only)
; SGPRBlocks: 2
; VGPRBlocks: 1
; NumSGPRsForWavesPerEU: 24
; NumVGPRsForWavesPerEU: 13
; AccumOffset: 16
; Occupancy: 8
; WaveLimiterHint : 0
; COMPUTE_PGM_RSRC2:SCRATCH_EN: 0
; COMPUTE_PGM_RSRC2:USER_SGPR: 6
; COMPUTE_PGM_RSRC2:TRAP_HANDLER: 0
; COMPUTE_PGM_RSRC2:TGID_X_EN: 1
; COMPUTE_PGM_RSRC2:TGID_Y_EN: 0
; COMPUTE_PGM_RSRC2:TGID_Z_EN: 0
; COMPUTE_PGM_RSRC2:TIDIG_COMP_CNT: 1
; COMPUTE_PGM_RSRC3_GFX90A:ACCUM_OFFSET: 3
; COMPUTE_PGM_RSRC3_GFX90A:TG_SPLIT: 0
	.section	.text._ZN2at6native12_GLOBAL__N_132weight_norm_bwd_first_dim_kernelIddEEvPT_S4_PKS3_S6_S6_PKT0_i,"axG",@progbits,_ZN2at6native12_GLOBAL__N_132weight_norm_bwd_first_dim_kernelIddEEvPT_S4_PKS3_S6_S6_PKT0_i,comdat
	.globl	_ZN2at6native12_GLOBAL__N_132weight_norm_bwd_first_dim_kernelIddEEvPT_S4_PKS3_S6_S6_PKT0_i ; -- Begin function _ZN2at6native12_GLOBAL__N_132weight_norm_bwd_first_dim_kernelIddEEvPT_S4_PKS3_S6_S6_PKT0_i
	.p2align	8
	.type	_ZN2at6native12_GLOBAL__N_132weight_norm_bwd_first_dim_kernelIddEEvPT_S4_PKS3_S6_S6_PKT0_i,@function
_ZN2at6native12_GLOBAL__N_132weight_norm_bwd_first_dim_kernelIddEEvPT_S4_PKS3_S6_S6_PKT0_i: ; @_ZN2at6native12_GLOBAL__N_132weight_norm_bwd_first_dim_kernelIddEEvPT_S4_PKS3_S6_S6_PKT0_i
; %bb.0:
	s_load_dwordx4 s[16:19], s[4:5], 0x20
	s_load_dword s22, s[4:5], 0x30
	s_load_dword s0, s[4:5], 0x44
	s_load_dwordx8 s[8:15], s[4:5], 0x0
	v_and_b32_e32 v8, 0x3ff, v0
	s_add_u32 s2, s4, 56
	s_waitcnt lgkmcnt(0)
	s_mul_i32 s4, s6, s22
	v_add_u32_e32 v2, s4, v8
	s_addc_u32 s3, s5, 0
	s_and_b32 s23, s0, 0xffff
	v_cmp_gt_i32_e64 s[0:1], s22, v8
	v_pk_mov_b32 v[4:5], 0, 0
	v_ashrrev_i32_e32 v3, 31, v2
	s_and_saveexec_b64 s[4:5], s[0:1]
	s_cbranch_execz .LBB8_4
; %bb.1:
	s_mov_b32 s24, 0
	v_lshlrev_b64 v[6:7], 3, v[2:3]
	s_lshl_b32 s7, s23, 3
	s_mov_b64 s[20:21], 0
	v_pk_mov_b32 v[4:5], 0, 0
	v_mov_b32_e32 v1, s13
	v_mov_b32_e32 v9, s15
	;; [unrolled: 1-line block ×4, first 2 shown]
.LBB8_2:                                ; =>This Inner Loop Header: Depth=1
	v_add_co_u32_e32 v12, vcc, s12, v6
	v_addc_co_u32_e32 v13, vcc, v1, v7, vcc
	v_add_co_u32_e32 v14, vcc, s14, v6
	v_addc_co_u32_e32 v15, vcc, v9, v7, vcc
	global_load_dwordx2 v[16:17], v[12:13], off
	global_load_dwordx2 v[18:19], v[14:15], off
	v_add_co_u32_e32 v6, vcc, s7, v6
	v_add_u32_e32 v11, s23, v11
	v_addc_co_u32_e32 v7, vcc, v7, v10, vcc
	v_cmp_le_i32_e32 vcc, s22, v11
	s_or_b64 s[20:21], vcc, s[20:21]
	s_waitcnt vmcnt(0)
	v_fmac_f64_e32 v[4:5], v[16:17], v[18:19]
	s_andn2_b64 exec, exec, s[20:21]
	s_cbranch_execnz .LBB8_2
; %bb.3:
	s_or_b64 exec, exec, s[20:21]
.LBB8_4:
	s_or_b64 exec, exec, s[4:5]
	s_load_dword s2, s[2:3], 0xc
	v_bfe_u32 v0, v0, 10, 10
	v_mad_u32_u24 v6, v0, s23, v8
	s_waitcnt lgkmcnt(0)
	s_lshr_b32 s2, s2, 16
	s_mul_i32 s2, s2, s23
	s_cmp_gt_i32 s2, 63
	s_cselect_b64 s[4:5], -1, 0
	s_cmp_lt_i32 s2, 64
	s_cbranch_scc1 .LBB8_6
; %bb.5:
	v_lshl_add_u32 v0, v6, 3, 0
	ds_write_b64 v0, v[4:5]
	s_waitcnt lgkmcnt(0)
	s_barrier
.LBB8_6:
	s_ashr_i32 s7, s2, 1
	s_cmp_lt_i32 s7, 64
	s_cbranch_scc1 .LBB8_11
; %bb.7:
	v_lshl_add_u32 v0, v6, 3, 0
	s_branch .LBB8_9
.LBB8_8:                                ;   in Loop: Header=BB8_9 Depth=1
	s_or_b64 exec, exec, s[2:3]
	s_lshr_b32 s2, s7, 1
	s_cmpk_lt_u32 s7, 0x80
	s_mov_b32 s7, s2
	s_waitcnt lgkmcnt(0)
	s_barrier
	s_cbranch_scc1 .LBB8_11
.LBB8_9:                                ; =>This Inner Loop Header: Depth=1
	v_cmp_gt_i32_e32 vcc, s7, v6
	s_and_saveexec_b64 s[2:3], vcc
	s_cbranch_execz .LBB8_8
; %bb.10:                               ;   in Loop: Header=BB8_9 Depth=1
	v_lshl_add_u32 v1, s7, 3, v0
	ds_read_b64 v[10:11], v0
	ds_read_b64 v[12:13], v1
	s_waitcnt lgkmcnt(0)
	v_add_f64 v[10:11], v[10:11], v[12:13]
	ds_write_b64 v0, v[10:11]
	s_branch .LBB8_8
.LBB8_11:
	v_cmp_gt_u32_e32 vcc, 32, v6
	s_and_saveexec_b64 s[2:3], vcc
	s_cbranch_execz .LBB8_16
; %bb.12:
	s_andn2_b64 vcc, exec, s[4:5]
	s_cbranch_vccnz .LBB8_14
; %bb.13:
	v_lshl_add_u32 v0, v6, 3, 0
	ds_read2_b64 v[10:13], v0 offset1:32
	s_waitcnt lgkmcnt(0)
	v_add_f64 v[4:5], v[10:11], v[12:13]
.LBB8_14:
	v_mbcnt_lo_u32_b32 v0, -1, 0
	v_mbcnt_hi_u32_b32 v7, -1, v0
	v_and_b32_e32 v9, 63, v7
	v_cmp_gt_u32_e32 vcc, 48, v9
	v_cndmask_b32_e64 v0, 0, 1, vcc
	v_lshlrev_b32_e32 v0, 4, v0
	v_add_lshl_u32 v1, v0, v7, 2
	ds_bpermute_b32 v0, v1, v4
	ds_bpermute_b32 v1, v1, v5
	v_cmp_gt_u32_e32 vcc, 56, v9
	v_cndmask_b32_e64 v10, 0, 1, vcc
	v_cmp_gt_u32_e32 vcc, 60, v9
	s_waitcnt lgkmcnt(0)
	v_add_f64 v[0:1], v[4:5], v[0:1]
	v_lshlrev_b32_e32 v4, 3, v10
	v_add_lshl_u32 v5, v4, v7, 2
	ds_bpermute_b32 v4, v5, v0
	ds_bpermute_b32 v5, v5, v1
	s_waitcnt lgkmcnt(0)
	v_add_f64 v[0:1], v[0:1], v[4:5]
	v_cndmask_b32_e64 v4, 0, 1, vcc
	v_lshlrev_b32_e32 v4, 2, v4
	v_add_lshl_u32 v5, v4, v7, 2
	ds_bpermute_b32 v4, v5, v0
	ds_bpermute_b32 v5, v5, v1
	v_cmp_gt_u32_e32 vcc, 62, v9
	s_waitcnt lgkmcnt(0)
	v_add_f64 v[0:1], v[0:1], v[4:5]
	v_cndmask_b32_e64 v4, 0, 1, vcc
	v_lshlrev_b32_e32 v4, 1, v4
	v_add_lshl_u32 v5, v4, v7, 2
	ds_bpermute_b32 v4, v5, v0
	ds_bpermute_b32 v5, v5, v1
	v_cmp_ne_u32_e32 vcc, 63, v9
	s_waitcnt lgkmcnt(0)
	v_add_f64 v[0:1], v[0:1], v[4:5]
	v_addc_co_u32_e32 v4, vcc, 0, v7, vcc
	v_lshlrev_b32_e32 v5, 2, v4
	ds_bpermute_b32 v4, v5, v0
	ds_bpermute_b32 v5, v5, v1
	v_cmp_eq_u32_e32 vcc, 0, v6
	s_and_b64 exec, exec, vcc
	s_cbranch_execz .LBB8_16
; %bb.15:
	s_waitcnt lgkmcnt(0)
	v_add_f64 v[0:1], v[0:1], v[4:5]
	v_mov_b32_e32 v4, 0
	ds_write_b64 v4, v[0:1]
.LBB8_16:
	s_or_b64 exec, exec, s[2:3]
	s_ashr_i32 s7, s6, 31
	s_lshl_b64 s[2:3], s[6:7], 3
	s_add_u32 s4, s18, s2
	s_addc_u32 s5, s19, s3
	s_waitcnt lgkmcnt(0)
	s_barrier
	s_load_dwordx2 s[4:5], s[4:5], 0x0
	v_mov_b32_e32 v6, 0
	ds_read_b64 v[0:1], v6
	s_waitcnt lgkmcnt(0)
	v_div_scale_f64 v[4:5], s[6:7], s[4:5], s[4:5], 1.0
	v_rcp_f64_e32 v[10:11], v[4:5]
	v_fma_f64 v[12:13], -v[4:5], v[10:11], 1.0
	v_fmac_f64_e32 v[10:11], v[10:11], v[12:13]
	v_fma_f64 v[12:13], -v[4:5], v[10:11], 1.0
	v_fmac_f64_e32 v[10:11], v[10:11], v[12:13]
	v_div_scale_f64 v[12:13], vcc, 1.0, s[4:5], 1.0
	v_mul_f64 v[14:15], v[12:13], v[10:11]
	v_fma_f64 v[4:5], -v[4:5], v[14:15], v[12:13]
	s_nop 1
	v_div_fmas_f64 v[4:5], v[4:5], v[10:11], v[14:15]
	v_div_fixup_f64 v[4:5], v[4:5], s[4:5], 1.0
	v_cmp_eq_u32_e32 vcc, 0, v8
	s_and_saveexec_b64 s[4:5], vcc
	s_cbranch_execz .LBB8_18
; %bb.17:
	s_add_u32 s6, s10, s2
	s_addc_u32 s7, s11, s3
	v_mul_f64 v[10:11], v[0:1], v[4:5]
	global_store_dwordx2 v6, v[10:11], s[6:7]
.LBB8_18:
	s_or_b64 exec, exec, s[4:5]
	s_and_saveexec_b64 s[4:5], s[0:1]
	s_cbranch_execz .LBB8_21
; %bb.19:
	s_add_u32 s0, s16, s2
	s_addc_u32 s1, s17, s3
	s_load_dwordx2 s[0:1], s[0:1], 0x0
	v_mul_f64 v[6:7], v[4:5], v[4:5]
	s_mov_b32 s5, 0
	v_mul_f64 v[6:7], v[4:5], v[6:7]
	v_lshlrev_b64 v[2:3], 3, v[2:3]
	s_lshl_b32 s4, s23, 3
	s_mov_b64 s[2:3], 0
	v_mov_b32_e32 v9, s13
	v_mov_b32_e32 v10, s15
	;; [unrolled: 1-line block ×4, first 2 shown]
.LBB8_20:                               ; =>This Inner Loop Header: Depth=1
	v_add_co_u32_e32 v14, vcc, s14, v2
	v_addc_co_u32_e32 v15, vcc, v10, v3, vcc
	v_add_co_u32_e32 v16, vcc, s12, v2
	global_load_dwordx2 v[14:15], v[14:15], off
	v_addc_co_u32_e32 v17, vcc, v9, v3, vcc
	global_load_dwordx2 v[16:17], v[16:17], off
	v_add_co_u32_e32 v18, vcc, s8, v2
	v_addc_co_u32_e32 v19, vcc, v11, v3, vcc
	v_add_co_u32_e32 v2, vcc, s4, v2
	v_add_u32_e32 v8, s23, v8
	v_addc_co_u32_e32 v3, vcc, v3, v12, vcc
	v_cmp_le_i32_e32 vcc, s22, v8
	s_or_b64 s[2:3], vcc, s[2:3]
	s_waitcnt vmcnt(1)
	v_mul_f64 v[14:15], v[6:7], v[14:15]
	v_mul_f64 v[14:15], v[0:1], v[14:15]
	s_waitcnt vmcnt(0)
	v_fma_f64 v[14:15], v[4:5], v[16:17], -v[14:15]
	s_waitcnt lgkmcnt(0)
	v_mul_f64 v[14:15], s[0:1], v[14:15]
	global_store_dwordx2 v[18:19], v[14:15], off
	s_andn2_b64 exec, exec, s[2:3]
	s_cbranch_execnz .LBB8_20
.LBB8_21:
	s_endpgm
	.section	.rodata,"a",@progbits
	.p2align	6, 0x0
	.amdhsa_kernel _ZN2at6native12_GLOBAL__N_132weight_norm_bwd_first_dim_kernelIddEEvPT_S4_PKS3_S6_S6_PKT0_i
		.amdhsa_group_segment_fixed_size 0
		.amdhsa_private_segment_fixed_size 0
		.amdhsa_kernarg_size 312
		.amdhsa_user_sgpr_count 6
		.amdhsa_user_sgpr_private_segment_buffer 1
		.amdhsa_user_sgpr_dispatch_ptr 0
		.amdhsa_user_sgpr_queue_ptr 0
		.amdhsa_user_sgpr_kernarg_segment_ptr 1
		.amdhsa_user_sgpr_dispatch_id 0
		.amdhsa_user_sgpr_flat_scratch_init 0
		.amdhsa_user_sgpr_kernarg_preload_length 0
		.amdhsa_user_sgpr_kernarg_preload_offset 0
		.amdhsa_user_sgpr_private_segment_size 0
		.amdhsa_uses_dynamic_stack 0
		.amdhsa_system_sgpr_private_segment_wavefront_offset 0
		.amdhsa_system_sgpr_workgroup_id_x 1
		.amdhsa_system_sgpr_workgroup_id_y 0
		.amdhsa_system_sgpr_workgroup_id_z 0
		.amdhsa_system_sgpr_workgroup_info 0
		.amdhsa_system_vgpr_workitem_id 1
		.amdhsa_next_free_vgpr 20
		.amdhsa_next_free_sgpr 25
		.amdhsa_accum_offset 20
		.amdhsa_reserve_vcc 1
		.amdhsa_reserve_flat_scratch 0
		.amdhsa_float_round_mode_32 0
		.amdhsa_float_round_mode_16_64 0
		.amdhsa_float_denorm_mode_32 3
		.amdhsa_float_denorm_mode_16_64 3
		.amdhsa_dx10_clamp 1
		.amdhsa_ieee_mode 1
		.amdhsa_fp16_overflow 0
		.amdhsa_tg_split 0
		.amdhsa_exception_fp_ieee_invalid_op 0
		.amdhsa_exception_fp_denorm_src 0
		.amdhsa_exception_fp_ieee_div_zero 0
		.amdhsa_exception_fp_ieee_overflow 0
		.amdhsa_exception_fp_ieee_underflow 0
		.amdhsa_exception_fp_ieee_inexact 0
		.amdhsa_exception_int_div_zero 0
	.end_amdhsa_kernel
	.section	.text._ZN2at6native12_GLOBAL__N_132weight_norm_bwd_first_dim_kernelIddEEvPT_S4_PKS3_S6_S6_PKT0_i,"axG",@progbits,_ZN2at6native12_GLOBAL__N_132weight_norm_bwd_first_dim_kernelIddEEvPT_S4_PKS3_S6_S6_PKT0_i,comdat
.Lfunc_end8:
	.size	_ZN2at6native12_GLOBAL__N_132weight_norm_bwd_first_dim_kernelIddEEvPT_S4_PKS3_S6_S6_PKT0_i, .Lfunc_end8-_ZN2at6native12_GLOBAL__N_132weight_norm_bwd_first_dim_kernelIddEEvPT_S4_PKS3_S6_S6_PKT0_i
                                        ; -- End function
	.section	.AMDGPU.csdata,"",@progbits
; Kernel info:
; codeLenInByte = 1116
; NumSgprs: 29
; NumVgprs: 20
; NumAgprs: 0
; TotalNumVgprs: 20
; ScratchSize: 0
; MemoryBound: 0
; FloatMode: 240
; IeeeMode: 1
; LDSByteSize: 0 bytes/workgroup (compile time only)
; SGPRBlocks: 3
; VGPRBlocks: 2
; NumSGPRsForWavesPerEU: 29
; NumVGPRsForWavesPerEU: 20
; AccumOffset: 20
; Occupancy: 8
; WaveLimiterHint : 0
; COMPUTE_PGM_RSRC2:SCRATCH_EN: 0
; COMPUTE_PGM_RSRC2:USER_SGPR: 6
; COMPUTE_PGM_RSRC2:TRAP_HANDLER: 0
; COMPUTE_PGM_RSRC2:TGID_X_EN: 1
; COMPUTE_PGM_RSRC2:TGID_Y_EN: 0
; COMPUTE_PGM_RSRC2:TGID_Z_EN: 0
; COMPUTE_PGM_RSRC2:TIDIG_COMP_CNT: 1
; COMPUTE_PGM_RSRC3_GFX90A:ACCUM_OFFSET: 4
; COMPUTE_PGM_RSRC3_GFX90A:TG_SPLIT: 0
	.section	.text._ZN2at6native12_GLOBAL__N_132weight_norm_bwd_first_dim_kernelIffEEvPT_S4_PKS3_S6_S6_PKT0_i,"axG",@progbits,_ZN2at6native12_GLOBAL__N_132weight_norm_bwd_first_dim_kernelIffEEvPT_S4_PKS3_S6_S6_PKT0_i,comdat
	.globl	_ZN2at6native12_GLOBAL__N_132weight_norm_bwd_first_dim_kernelIffEEvPT_S4_PKS3_S6_S6_PKT0_i ; -- Begin function _ZN2at6native12_GLOBAL__N_132weight_norm_bwd_first_dim_kernelIffEEvPT_S4_PKS3_S6_S6_PKT0_i
	.p2align	8
	.type	_ZN2at6native12_GLOBAL__N_132weight_norm_bwd_first_dim_kernelIffEEvPT_S4_PKS3_S6_S6_PKT0_i,@function
_ZN2at6native12_GLOBAL__N_132weight_norm_bwd_first_dim_kernelIffEEvPT_S4_PKS3_S6_S6_PKT0_i: ; @_ZN2at6native12_GLOBAL__N_132weight_norm_bwd_first_dim_kernelIffEEvPT_S4_PKS3_S6_S6_PKT0_i
; %bb.0:
	s_load_dwordx4 s[16:19], s[4:5], 0x20
	s_load_dword s22, s[4:5], 0x30
	s_load_dword s0, s[4:5], 0x44
	s_load_dwordx8 s[8:15], s[4:5], 0x0
	v_and_b32_e32 v8, 0x3ff, v0
	s_add_u32 s2, s4, 56
	s_addc_u32 s3, s5, 0
	s_waitcnt lgkmcnt(0)
	s_and_b32 s23, s0, 0xffff
	s_mul_i32 s24, s6, s22
	v_cmp_gt_i32_e64 s[0:1], s22, v8
	v_mov_b32_e32 v1, 0
	s_and_saveexec_b64 s[4:5], s[0:1]
	s_cbranch_execz .LBB9_4
; %bb.1:
	v_add_u32_e32 v2, s24, v8
	v_ashrrev_i32_e32 v3, 31, v2
	s_mov_b32 s25, 0
	v_lshlrev_b64 v[2:3], 2, v[2:3]
	s_lshl_b32 s7, s23, 2
	s_mov_b64 s[20:21], 0
	v_mov_b32_e32 v1, 0
	v_mov_b32_e32 v4, s13
	;; [unrolled: 1-line block ×5, first 2 shown]
.LBB9_2:                                ; =>This Inner Loop Header: Depth=1
	v_add_co_u32_e32 v10, vcc, s12, v2
	v_addc_co_u32_e32 v11, vcc, v4, v3, vcc
	v_add_co_u32_e32 v12, vcc, s14, v2
	v_addc_co_u32_e32 v13, vcc, v5, v3, vcc
	global_load_dword v9, v[10:11], off
	global_load_dword v14, v[12:13], off
	v_add_co_u32_e32 v2, vcc, s7, v2
	v_add_u32_e32 v7, s23, v7
	v_addc_co_u32_e32 v3, vcc, v3, v6, vcc
	v_cmp_le_i32_e32 vcc, s22, v7
	s_or_b64 s[20:21], vcc, s[20:21]
	s_waitcnt vmcnt(0)
	v_fmac_f32_e32 v1, v9, v14
	s_andn2_b64 exec, exec, s[20:21]
	s_cbranch_execnz .LBB9_2
; %bb.3:
	s_or_b64 exec, exec, s[20:21]
.LBB9_4:
	s_or_b64 exec, exec, s[4:5]
	s_load_dword s2, s[2:3], 0xc
	v_bfe_u32 v0, v0, 10, 10
	v_mad_u32_u24 v0, v0, s23, v8
	s_waitcnt lgkmcnt(0)
	s_lshr_b32 s2, s2, 16
	s_mul_i32 s2, s2, s23
	s_cmp_gt_i32 s2, 63
	s_cselect_b64 s[4:5], -1, 0
	s_cmp_lt_i32 s2, 64
	s_cbranch_scc1 .LBB9_6
; %bb.5:
	v_lshl_add_u32 v2, v0, 2, 0
	ds_write_b32 v2, v1
	s_waitcnt lgkmcnt(0)
	s_barrier
.LBB9_6:
	s_ashr_i32 s7, s2, 1
	s_cmp_lt_i32 s7, 64
	s_cbranch_scc1 .LBB9_11
; %bb.7:
	v_lshl_add_u32 v2, v0, 2, 0
	s_branch .LBB9_9
.LBB9_8:                                ;   in Loop: Header=BB9_9 Depth=1
	s_or_b64 exec, exec, s[2:3]
	s_lshr_b32 s2, s7, 1
	s_cmpk_lt_u32 s7, 0x80
	s_mov_b32 s7, s2
	s_waitcnt lgkmcnt(0)
	s_barrier
	s_cbranch_scc1 .LBB9_11
.LBB9_9:                                ; =>This Inner Loop Header: Depth=1
	v_cmp_gt_i32_e32 vcc, s7, v0
	s_and_saveexec_b64 s[2:3], vcc
	s_cbranch_execz .LBB9_8
; %bb.10:                               ;   in Loop: Header=BB9_9 Depth=1
	v_lshl_add_u32 v3, s7, 2, v2
	ds_read_b32 v4, v2
	ds_read_b32 v3, v3
	s_waitcnt lgkmcnt(0)
	v_add_f32_e32 v3, v4, v3
	ds_write_b32 v2, v3
	s_branch .LBB9_8
.LBB9_11:
	v_cmp_gt_u32_e32 vcc, 32, v0
	s_and_saveexec_b64 s[2:3], vcc
	s_cbranch_execz .LBB9_16
; %bb.12:
	s_andn2_b64 vcc, exec, s[4:5]
	s_cbranch_vccnz .LBB9_14
; %bb.13:
	v_lshl_add_u32 v1, v0, 2, 0
	ds_read2_b32 v[2:3], v1 offset1:32
	s_waitcnt lgkmcnt(0)
	v_add_f32_e32 v1, v2, v3
.LBB9_14:
	v_mbcnt_lo_u32_b32 v2, -1, 0
	v_mbcnt_hi_u32_b32 v2, -1, v2
	v_and_b32_e32 v3, 63, v2
	v_cmp_gt_u32_e32 vcc, 48, v3
	v_cndmask_b32_e64 v4, 0, 1, vcc
	v_lshlrev_b32_e32 v4, 4, v4
	v_add_lshl_u32 v4, v4, v2, 2
	ds_bpermute_b32 v4, v4, v1
	v_cmp_gt_u32_e32 vcc, 56, v3
	v_cndmask_b32_e64 v5, 0, 1, vcc
	v_lshlrev_b32_e32 v5, 3, v5
	v_cmp_gt_u32_e32 vcc, 60, v3
	s_waitcnt lgkmcnt(0)
	v_add_f32_e32 v1, v1, v4
	v_add_lshl_u32 v4, v5, v2, 2
	ds_bpermute_b32 v4, v4, v1
	v_cndmask_b32_e64 v5, 0, 1, vcc
	v_lshlrev_b32_e32 v5, 2, v5
	v_cmp_gt_u32_e32 vcc, 62, v3
	s_waitcnt lgkmcnt(0)
	v_add_f32_e32 v1, v1, v4
	v_add_lshl_u32 v4, v5, v2, 2
	ds_bpermute_b32 v4, v4, v1
	v_cndmask_b32_e64 v5, 0, 1, vcc
	v_lshlrev_b32_e32 v5, 1, v5
	v_cmp_ne_u32_e32 vcc, 63, v3
	s_waitcnt lgkmcnt(0)
	v_add_f32_e32 v1, v1, v4
	v_add_lshl_u32 v4, v5, v2, 2
	ds_bpermute_b32 v4, v4, v1
	v_addc_co_u32_e32 v2, vcc, 0, v2, vcc
	v_lshlrev_b32_e32 v2, 2, v2
	v_cmp_eq_u32_e32 vcc, 0, v0
	s_waitcnt lgkmcnt(0)
	v_add_f32_e32 v1, v1, v4
	ds_bpermute_b32 v2, v2, v1
	s_and_b64 exec, exec, vcc
	s_cbranch_execz .LBB9_16
; %bb.15:
	s_waitcnt lgkmcnt(0)
	v_add_f32_e32 v0, v1, v2
	v_mov_b32_e32 v1, 0
	ds_write_b32 v1, v0
.LBB9_16:
	s_or_b64 exec, exec, s[2:3]
	s_ashr_i32 s7, s6, 31
	s_lshl_b64 s[2:3], s[6:7], 2
	s_add_u32 s4, s18, s2
	s_addc_u32 s5, s19, s3
	s_waitcnt lgkmcnt(0)
	s_barrier
	s_load_dword s6, s[4:5], 0x0
	v_mov_b32_e32 v1, 0
	ds_read_b32 v0, v1
	s_waitcnt lgkmcnt(0)
	v_div_scale_f32 v2, s[4:5], s6, s6, 1.0
	v_rcp_f32_e32 v3, v2
	v_fma_f32 v4, -v2, v3, 1.0
	v_fmac_f32_e32 v3, v4, v3
	v_div_scale_f32 v4, vcc, 1.0, s6, 1.0
	v_mul_f32_e32 v5, v4, v3
	v_fma_f32 v6, -v2, v5, v4
	v_fmac_f32_e32 v5, v6, v3
	v_fma_f32 v2, -v2, v5, v4
	v_div_fmas_f32 v2, v2, v3, v5
	v_div_fixup_f32 v2, v2, s6, 1.0
	v_cmp_eq_u32_e32 vcc, 0, v8
	s_and_saveexec_b64 s[4:5], vcc
	s_cbranch_execz .LBB9_18
; %bb.17:
	s_add_u32 s6, s10, s2
	s_addc_u32 s7, s11, s3
	v_mul_f32_e32 v3, v0, v2
	global_store_dword v1, v3, s[6:7]
.LBB9_18:
	s_or_b64 exec, exec, s[4:5]
	s_and_saveexec_b64 s[4:5], s[0:1]
	s_cbranch_execz .LBB9_26
; %bb.19:
	v_cvt_f32_u32_e32 v1, s23
	v_mul_f32_e32 v3, v2, v2
	s_add_u32 s0, s16, s2
	v_mul_f32_e32 v4, v2, v3
	v_rcp_iflag_f32_e32 v1, v1
	v_add_u32_e32 v3, s23, v8
	s_addc_u32 s1, s17, s3
	v_mov_b32_e32 v6, s23
	v_mul_f32_e32 v1, 0x4f7ffffe, v1
	v_cvt_u32_f32_e32 v1, v1
	v_cmp_gt_i32_e32 vcc, s22, v3
	s_load_dword s2, s[0:1], 0x0
	v_max_i32_e32 v5, s22, v3
	v_addc_co_u32_e64 v3, s[0:1], v8, v6, vcc
	s_sub_i32 s0, 0, s23
	v_sub_u32_e32 v3, v5, v3
	v_mul_lo_u32 v5, s0, v1
	v_mul_hi_u32 v5, v1, v5
	v_add_u32_e32 v1, v1, v5
	v_mul_hi_u32 v1, v3, v1
	v_mul_lo_u32 v5, v1, s23
	v_sub_u32_e32 v3, v3, v5
	v_add_u32_e32 v5, 1, v1
	v_cmp_le_u32_e64 s[0:1], s23, v3
	v_cndmask_b32_e64 v1, v1, v5, s[0:1]
	v_subrev_u32_e32 v5, s23, v3
	v_cndmask_b32_e64 v3, v3, v5, s[0:1]
	v_add_u32_e32 v5, 1, v1
	v_cmp_le_u32_e64 s[0:1], s23, v3
	v_cndmask_b32_e64 v1, v1, v5, s[0:1]
	v_addc_co_u32_e32 v9, vcc, 1, v1, vcc
	s_cmp_eq_u32 s23, 1
	v_cmp_lt_u32_e32 vcc, 1, v9
	s_cselect_b64 s[0:1], -1, 0
	s_and_b64 s[6:7], vcc, s[0:1]
	s_mov_b64 s[0:1], -1
	s_and_saveexec_b64 s[4:5], s[6:7]
	s_cbranch_execz .LBB9_23
; %bb.20:
	v_and_b32_e32 v10, -2, v9
	v_mov_b32_e32 v3, v2
	v_mov_b32_e32 v5, v4
	;; [unrolled: 1-line block ×3, first 2 shown]
	s_waitcnt lgkmcnt(0)
	s_mov_b32 s3, s2
	v_add_u32_e32 v6, s24, v8
	s_mov_b64 s[6:7], 0
	v_mov_b32_e32 v11, s13
	v_mov_b32_e32 v12, s15
	;; [unrolled: 1-line block ×4, first 2 shown]
.LBB9_21:                               ; =>This Inner Loop Header: Depth=1
	v_ashrrev_i32_e32 v7, 31, v6
	v_lshlrev_b64 v[16:17], 2, v[6:7]
	v_add_co_u32_e32 v18, vcc, s14, v16
	v_addc_co_u32_e32 v19, vcc, v12, v17, vcc
	global_load_dwordx2 v[18:19], v[18:19], off
	v_add_co_u32_e32 v20, vcc, s12, v16
	v_addc_co_u32_e32 v21, vcc, v11, v17, vcc
	global_load_dwordx2 v[20:21], v[20:21], off
	v_add_u32_e32 v14, -2, v14
	v_cmp_eq_u32_e32 vcc, 0, v14
	v_add_co_u32_e64 v16, s[0:1], s8, v16
	v_addc_co_u32_e64 v17, s[0:1], v13, v17, s[0:1]
	s_or_b64 s[6:7], vcc, s[6:7]
	v_add_u32_e32 v6, 2, v6
	s_waitcnt vmcnt(1)
	v_pk_mul_f32 v[18:19], v[4:5], v[18:19]
	v_pk_mul_f32 v[18:19], v[0:1], v[18:19]
	s_waitcnt vmcnt(0)
	v_pk_fma_f32 v[18:19], v[2:3], v[20:21], v[18:19] neg_lo:[0,0,1] neg_hi:[0,0,1]
	v_pk_mul_f32 v[18:19], s[2:3], v[18:19]
	global_store_dwordx2 v[16:17], v[18:19], off
	s_andn2_b64 exec, exec, s[6:7]
	s_cbranch_execnz .LBB9_21
; %bb.22:
	s_or_b64 exec, exec, s[6:7]
	v_cmp_ne_u32_e32 vcc, v9, v10
	v_add_u32_e32 v8, v8, v10
	s_orn2_b64 s[0:1], vcc, exec
.LBB9_23:
	s_or_b64 exec, exec, s[4:5]
	s_and_b64 exec, exec, s[0:1]
	s_cbranch_execz .LBB9_26
; %bb.24:
	s_ashr_i32 s0, s24, 31
	v_ashrrev_i32_e32 v1, 31, v8
	v_mov_b32_e32 v3, s0
	v_add_co_u32_e32 v6, vcc, s24, v8
	v_addc_co_u32_e32 v7, vcc, v1, v3, vcc
	s_mov_b32 s4, 0
	v_lshlrev_b64 v[6:7], 2, v[6:7]
	s_lshl_b32 s3, s23, 2
	s_mov_b64 s[0:1], 0
	v_mov_b32_e32 v1, s13
	v_mov_b32_e32 v3, s15
	;; [unrolled: 1-line block ×4, first 2 shown]
.LBB9_25:                               ; =>This Inner Loop Header: Depth=1
	v_add_co_u32_e32 v10, vcc, s14, v6
	v_addc_co_u32_e32 v11, vcc, v3, v7, vcc
	v_add_co_u32_e32 v12, vcc, s12, v6
	global_load_dword v14, v[10:11], off
	v_addc_co_u32_e32 v13, vcc, v1, v7, vcc
	global_load_dword v12, v[12:13], off
	v_add_co_u32_e32 v10, vcc, s8, v6
	v_addc_co_u32_e32 v11, vcc, v5, v7, vcc
	v_add_co_u32_e32 v6, vcc, s3, v6
	v_add_u32_e32 v8, s23, v8
	v_addc_co_u32_e32 v7, vcc, v7, v9, vcc
	v_cmp_le_i32_e32 vcc, s22, v8
	s_or_b64 s[0:1], vcc, s[0:1]
	s_waitcnt vmcnt(1)
	v_mul_f32_e32 v13, v4, v14
	v_mul_f32_e32 v13, v0, v13
	s_waitcnt vmcnt(0)
	v_fma_f32 v12, v2, v12, -v13
	s_waitcnt lgkmcnt(0)
	v_mul_f32_e32 v12, s2, v12
	global_store_dword v[10:11], v12, off
	s_andn2_b64 exec, exec, s[0:1]
	s_cbranch_execnz .LBB9_25
.LBB9_26:
	s_endpgm
	.section	.rodata,"a",@progbits
	.p2align	6, 0x0
	.amdhsa_kernel _ZN2at6native12_GLOBAL__N_132weight_norm_bwd_first_dim_kernelIffEEvPT_S4_PKS3_S6_S6_PKT0_i
		.amdhsa_group_segment_fixed_size 0
		.amdhsa_private_segment_fixed_size 0
		.amdhsa_kernarg_size 312
		.amdhsa_user_sgpr_count 6
		.amdhsa_user_sgpr_private_segment_buffer 1
		.amdhsa_user_sgpr_dispatch_ptr 0
		.amdhsa_user_sgpr_queue_ptr 0
		.amdhsa_user_sgpr_kernarg_segment_ptr 1
		.amdhsa_user_sgpr_dispatch_id 0
		.amdhsa_user_sgpr_flat_scratch_init 0
		.amdhsa_user_sgpr_kernarg_preload_length 0
		.amdhsa_user_sgpr_kernarg_preload_offset 0
		.amdhsa_user_sgpr_private_segment_size 0
		.amdhsa_uses_dynamic_stack 0
		.amdhsa_system_sgpr_private_segment_wavefront_offset 0
		.amdhsa_system_sgpr_workgroup_id_x 1
		.amdhsa_system_sgpr_workgroup_id_y 0
		.amdhsa_system_sgpr_workgroup_id_z 0
		.amdhsa_system_sgpr_workgroup_info 0
		.amdhsa_system_vgpr_workitem_id 1
		.amdhsa_next_free_vgpr 22
		.amdhsa_next_free_sgpr 26
		.amdhsa_accum_offset 24
		.amdhsa_reserve_vcc 1
		.amdhsa_reserve_flat_scratch 0
		.amdhsa_float_round_mode_32 0
		.amdhsa_float_round_mode_16_64 0
		.amdhsa_float_denorm_mode_32 3
		.amdhsa_float_denorm_mode_16_64 3
		.amdhsa_dx10_clamp 1
		.amdhsa_ieee_mode 1
		.amdhsa_fp16_overflow 0
		.amdhsa_tg_split 0
		.amdhsa_exception_fp_ieee_invalid_op 0
		.amdhsa_exception_fp_denorm_src 0
		.amdhsa_exception_fp_ieee_div_zero 0
		.amdhsa_exception_fp_ieee_overflow 0
		.amdhsa_exception_fp_ieee_underflow 0
		.amdhsa_exception_fp_ieee_inexact 0
		.amdhsa_exception_int_div_zero 0
	.end_amdhsa_kernel
	.section	.text._ZN2at6native12_GLOBAL__N_132weight_norm_bwd_first_dim_kernelIffEEvPT_S4_PKS3_S6_S6_PKT0_i,"axG",@progbits,_ZN2at6native12_GLOBAL__N_132weight_norm_bwd_first_dim_kernelIffEEvPT_S4_PKS3_S6_S6_PKT0_i,comdat
.Lfunc_end9:
	.size	_ZN2at6native12_GLOBAL__N_132weight_norm_bwd_first_dim_kernelIffEEvPT_S4_PKS3_S6_S6_PKT0_i, .Lfunc_end9-_ZN2at6native12_GLOBAL__N_132weight_norm_bwd_first_dim_kernelIffEEvPT_S4_PKS3_S6_S6_PKT0_i
                                        ; -- End function
	.section	.AMDGPU.csdata,"",@progbits
; Kernel info:
; codeLenInByte = 1412
; NumSgprs: 30
; NumVgprs: 22
; NumAgprs: 0
; TotalNumVgprs: 22
; ScratchSize: 0
; MemoryBound: 0
; FloatMode: 240
; IeeeMode: 1
; LDSByteSize: 0 bytes/workgroup (compile time only)
; SGPRBlocks: 3
; VGPRBlocks: 2
; NumSGPRsForWavesPerEU: 30
; NumVGPRsForWavesPerEU: 22
; AccumOffset: 24
; Occupancy: 8
; WaveLimiterHint : 0
; COMPUTE_PGM_RSRC2:SCRATCH_EN: 0
; COMPUTE_PGM_RSRC2:USER_SGPR: 6
; COMPUTE_PGM_RSRC2:TRAP_HANDLER: 0
; COMPUTE_PGM_RSRC2:TGID_X_EN: 1
; COMPUTE_PGM_RSRC2:TGID_Y_EN: 0
; COMPUTE_PGM_RSRC2:TGID_Z_EN: 0
; COMPUTE_PGM_RSRC2:TIDIG_COMP_CNT: 1
; COMPUTE_PGM_RSRC3_GFX90A:ACCUM_OFFSET: 5
; COMPUTE_PGM_RSRC3_GFX90A:TG_SPLIT: 0
	.section	.text._ZN2at6native12_GLOBAL__N_132weight_norm_bwd_first_dim_kernelIN3c108BFloat16EfEEvPT_S6_PKS5_S8_S8_PKT0_i,"axG",@progbits,_ZN2at6native12_GLOBAL__N_132weight_norm_bwd_first_dim_kernelIN3c108BFloat16EfEEvPT_S6_PKS5_S8_S8_PKT0_i,comdat
	.globl	_ZN2at6native12_GLOBAL__N_132weight_norm_bwd_first_dim_kernelIN3c108BFloat16EfEEvPT_S6_PKS5_S8_S8_PKT0_i ; -- Begin function _ZN2at6native12_GLOBAL__N_132weight_norm_bwd_first_dim_kernelIN3c108BFloat16EfEEvPT_S6_PKS5_S8_S8_PKT0_i
	.p2align	8
	.type	_ZN2at6native12_GLOBAL__N_132weight_norm_bwd_first_dim_kernelIN3c108BFloat16EfEEvPT_S6_PKS5_S8_S8_PKT0_i,@function
_ZN2at6native12_GLOBAL__N_132weight_norm_bwd_first_dim_kernelIN3c108BFloat16EfEEvPT_S6_PKS5_S8_S8_PKT0_i: ; @_ZN2at6native12_GLOBAL__N_132weight_norm_bwd_first_dim_kernelIN3c108BFloat16EfEEvPT_S6_PKS5_S8_S8_PKT0_i
; %bb.0:
	s_load_dwordx4 s[16:19], s[4:5], 0x20
	s_load_dword s22, s[4:5], 0x30
	s_load_dword s0, s[4:5], 0x44
	s_load_dwordx8 s[8:15], s[4:5], 0x0
	v_and_b32_e32 v20, 0x3ff, v0
	s_add_u32 s2, s4, 56
	s_addc_u32 s3, s5, 0
	s_waitcnt lgkmcnt(0)
	s_and_b32 s23, s0, 0xffff
	s_mul_i32 s24, s6, s22
	v_cmp_gt_i32_e64 s[0:1], s22, v20
	v_mov_b32_e32 v1, 0
	s_and_saveexec_b64 s[4:5], s[0:1]
	s_cbranch_execz .LBB10_4
; %bb.1:
	v_add_u32_e32 v2, s24, v20
	v_ashrrev_i32_e32 v3, 31, v2
	s_mov_b32 s25, 0
	v_lshlrev_b64 v[2:3], 1, v[2:3]
	s_lshl_b32 s7, s23, 1
	s_mov_b64 s[20:21], 0
	v_mov_b32_e32 v1, 0
	v_mov_b32_e32 v4, s13
	v_mov_b32_e32 v5, s15
	v_mov_b32_e32 v6, s25
	v_mov_b32_e32 v7, v20
.LBB10_2:                               ; =>This Inner Loop Header: Depth=1
	v_add_co_u32_e32 v8, vcc, s12, v2
	v_addc_co_u32_e32 v9, vcc, v4, v3, vcc
	v_add_co_u32_e32 v10, vcc, s14, v2
	v_addc_co_u32_e32 v11, vcc, v5, v3, vcc
	global_load_ushort v12, v[8:9], off
	global_load_ushort v13, v[10:11], off
	v_add_co_u32_e32 v2, vcc, s7, v2
	v_add_u32_e32 v7, s23, v7
	v_addc_co_u32_e32 v3, vcc, v3, v6, vcc
	v_cmp_le_i32_e32 vcc, s22, v7
	s_or_b64 s[20:21], vcc, s[20:21]
	s_waitcnt vmcnt(1)
	v_lshlrev_b32_e32 v8, 16, v12
	s_waitcnt vmcnt(0)
	v_lshlrev_b32_e32 v9, 16, v13
	v_fmac_f32_e32 v1, v9, v8
	s_andn2_b64 exec, exec, s[20:21]
	s_cbranch_execnz .LBB10_2
; %bb.3:
	s_or_b64 exec, exec, s[20:21]
.LBB10_4:
	s_or_b64 exec, exec, s[4:5]
	s_load_dword s2, s[2:3], 0xc
	v_bfe_u32 v0, v0, 10, 10
	v_mad_u32_u24 v0, v0, s23, v20
	s_waitcnt lgkmcnt(0)
	s_lshr_b32 s2, s2, 16
	s_mul_i32 s2, s2, s23
	s_cmp_gt_i32 s2, 63
	s_cselect_b64 s[4:5], -1, 0
	s_cmp_lt_i32 s2, 64
	s_cbranch_scc1 .LBB10_6
; %bb.5:
	v_lshl_add_u32 v2, v0, 2, 0
	ds_write_b32 v2, v1
	s_waitcnt lgkmcnt(0)
	s_barrier
.LBB10_6:
	s_ashr_i32 s7, s2, 1
	s_cmp_lt_i32 s7, 64
	s_cbranch_scc1 .LBB10_11
; %bb.7:
	v_lshl_add_u32 v2, v0, 2, 0
	s_branch .LBB10_9
.LBB10_8:                               ;   in Loop: Header=BB10_9 Depth=1
	s_or_b64 exec, exec, s[2:3]
	s_lshr_b32 s2, s7, 1
	s_cmpk_lt_u32 s7, 0x80
	s_mov_b32 s7, s2
	s_waitcnt lgkmcnt(0)
	s_barrier
	s_cbranch_scc1 .LBB10_11
.LBB10_9:                               ; =>This Inner Loop Header: Depth=1
	v_cmp_gt_i32_e32 vcc, s7, v0
	s_and_saveexec_b64 s[2:3], vcc
	s_cbranch_execz .LBB10_8
; %bb.10:                               ;   in Loop: Header=BB10_9 Depth=1
	v_lshl_add_u32 v3, s7, 2, v2
	ds_read_b32 v4, v2
	ds_read_b32 v3, v3
	s_waitcnt lgkmcnt(0)
	v_add_f32_e32 v3, v4, v3
	ds_write_b32 v2, v3
	s_branch .LBB10_8
.LBB10_11:
	v_cmp_gt_u32_e32 vcc, 32, v0
	s_and_saveexec_b64 s[2:3], vcc
	s_cbranch_execz .LBB10_16
; %bb.12:
	s_andn2_b64 vcc, exec, s[4:5]
	s_cbranch_vccnz .LBB10_14
; %bb.13:
	v_lshl_add_u32 v1, v0, 2, 0
	ds_read2_b32 v[2:3], v1 offset1:32
	s_waitcnt lgkmcnt(0)
	v_add_f32_e32 v1, v2, v3
.LBB10_14:
	v_mbcnt_lo_u32_b32 v2, -1, 0
	v_mbcnt_hi_u32_b32 v2, -1, v2
	v_and_b32_e32 v3, 63, v2
	v_cmp_gt_u32_e32 vcc, 48, v3
	v_cndmask_b32_e64 v4, 0, 1, vcc
	v_lshlrev_b32_e32 v4, 4, v4
	v_add_lshl_u32 v4, v4, v2, 2
	ds_bpermute_b32 v4, v4, v1
	v_cmp_gt_u32_e32 vcc, 56, v3
	v_cndmask_b32_e64 v5, 0, 1, vcc
	v_lshlrev_b32_e32 v5, 3, v5
	v_cmp_gt_u32_e32 vcc, 60, v3
	s_waitcnt lgkmcnt(0)
	v_add_f32_e32 v1, v1, v4
	v_add_lshl_u32 v4, v5, v2, 2
	ds_bpermute_b32 v4, v4, v1
	v_cndmask_b32_e64 v5, 0, 1, vcc
	v_lshlrev_b32_e32 v5, 2, v5
	v_cmp_gt_u32_e32 vcc, 62, v3
	s_waitcnt lgkmcnt(0)
	v_add_f32_e32 v1, v1, v4
	v_add_lshl_u32 v4, v5, v2, 2
	ds_bpermute_b32 v4, v4, v1
	v_cndmask_b32_e64 v5, 0, 1, vcc
	v_lshlrev_b32_e32 v5, 1, v5
	v_cmp_ne_u32_e32 vcc, 63, v3
	s_waitcnt lgkmcnt(0)
	v_add_f32_e32 v1, v1, v4
	v_add_lshl_u32 v4, v5, v2, 2
	ds_bpermute_b32 v4, v4, v1
	v_addc_co_u32_e32 v2, vcc, 0, v2, vcc
	v_lshlrev_b32_e32 v2, 2, v2
	v_cmp_eq_u32_e32 vcc, 0, v0
	s_waitcnt lgkmcnt(0)
	v_add_f32_e32 v1, v1, v4
	ds_bpermute_b32 v2, v2, v1
	s_and_b64 exec, exec, vcc
	s_cbranch_execz .LBB10_16
; %bb.15:
	s_waitcnt lgkmcnt(0)
	v_add_f32_e32 v0, v1, v2
	v_mov_b32_e32 v1, 0
	ds_write_b32 v1, v0
.LBB10_16:
	s_or_b64 exec, exec, s[2:3]
	s_ashr_i32 s7, s6, 31
	s_lshl_b64 s[2:3], s[6:7], 2
	s_add_u32 s2, s18, s2
	s_addc_u32 s3, s19, s3
	s_waitcnt lgkmcnt(0)
	s_barrier
	s_load_dword s4, s[2:3], 0x0
	v_mov_b32_e32 v1, 0
	ds_read_b32 v0, v1
	s_waitcnt lgkmcnt(0)
	v_div_scale_f32 v2, s[2:3], s4, s4, 1.0
	v_rcp_f32_e32 v3, v2
	v_fma_f32 v4, -v2, v3, 1.0
	v_fmac_f32_e32 v3, v4, v3
	v_div_scale_f32 v4, vcc, 1.0, s4, 1.0
	v_mul_f32_e32 v5, v4, v3
	v_fma_f32 v6, -v2, v5, v4
	v_fmac_f32_e32 v5, v6, v3
	v_fma_f32 v2, -v2, v5, v4
	v_div_fmas_f32 v2, v2, v3, v5
	v_div_fixup_f32 v2, v2, s4, 1.0
	v_cmp_eq_u32_e32 vcc, 0, v20
	s_and_saveexec_b64 s[2:3], vcc
	s_cbranch_execz .LBB10_18
; %bb.17:
	v_mul_f32_e32 v3, v0, v2
	v_bfe_u32 v4, v3, 16, 1
	v_add_u32_e32 v4, v3, v4
	v_add_u32_e32 v4, 0x7fff, v4
	s_lshl_b64 s[4:5], s[6:7], 1
	v_lshrrev_b32_e32 v4, 16, v4
	v_mov_b32_e32 v5, 0x7fc0
	v_cmp_o_f32_e32 vcc, v3, v3
	s_add_u32 s4, s10, s4
	v_cndmask_b32_e32 v3, v5, v4, vcc
	s_addc_u32 s5, s11, s5
	global_store_short v1, v3, s[4:5]
.LBB10_18:
	s_or_b64 exec, exec, s[2:3]
	s_and_saveexec_b64 s[2:3], s[0:1]
	s_cbranch_execz .LBB10_26
; %bb.19:
	s_lshl_b64 s[0:1], s[6:7], 1
	s_add_u32 s0, s16, s0
	s_addc_u32 s1, s17, s1
	v_mov_b32_e32 v1, 0
	global_load_ushort v1, v1, s[0:1]
	v_cvt_f32_u32_e32 v5, s23
	v_add_u32_e32 v4, s23, v20
	v_mov_b32_e32 v6, s23
	v_cmp_gt_i32_e32 vcc, s22, v4
	v_rcp_iflag_f32_e32 v5, v5
	v_max_i32_e32 v7, s22, v4
	v_addc_co_u32_e64 v4, s[0:1], v20, v6, vcc
	v_mul_f32_e32 v5, 0x4f7ffffe, v5
	v_cvt_u32_f32_e32 v5, v5
	s_sub_i32 s0, 0, s23
	v_sub_u32_e32 v4, v7, v4
	s_cmp_eq_u32 s23, 1
	v_mul_lo_u32 v6, s0, v5
	v_mul_hi_u32 v6, v5, v6
	v_add_u32_e32 v5, v5, v6
	v_mul_hi_u32 v5, v4, v5
	v_mul_lo_u32 v6, v5, s23
	v_sub_u32_e32 v4, v4, v6
	v_add_u32_e32 v7, 1, v5
	v_cmp_le_u32_e64 s[0:1], s23, v4
	v_subrev_u32_e32 v6, s23, v4
	v_cndmask_b32_e64 v5, v5, v7, s[0:1]
	v_cndmask_b32_e64 v4, v4, v6, s[0:1]
	v_add_u32_e32 v6, 1, v5
	v_cmp_le_u32_e64 s[0:1], s23, v4
	v_cndmask_b32_e64 v4, v5, v6, s[0:1]
	v_addc_co_u32_e32 v21, vcc, 1, v4, vcc
	v_mul_f32_e32 v3, v2, v2
	s_cselect_b64 s[2:3], -1, 0
	v_cmp_lt_u32_e32 vcc, 3, v21
	v_mul_f32_e32 v3, v2, v3
	s_and_b64 s[4:5], vcc, s[2:3]
	s_mov_b64 s[0:1], -1
	s_waitcnt vmcnt(0)
	v_lshlrev_b32_e32 v4, 16, v1
	s_and_saveexec_b64 s[2:3], s[4:5]
	s_cbranch_execz .LBB10_23
; %bb.20:
	v_and_b32_e32 v22, -4, v21
	v_mov_b32_e32 v6, v2
	v_mov_b32_e32 v7, v2
	;; [unrolled: 1-line block ×6, first 2 shown]
	v_add_u32_e32 v10, s24, v20
	s_mov_b64 s[4:5], 0
	v_mov_b32_e32 v23, s13
	v_mov_b32_e32 v24, s15
	;; [unrolled: 1-line block ×10, first 2 shown]
	s_movk_i32 s6, 0x7fff
	v_mov_b32_e32 v25, 0x7fc0
	s_mov_b32 s7, 0x5040100
	v_mov_b32_e32 v26, s9
	v_mov_b32_e32 v27, v22
.LBB10_21:                              ; =>This Inner Loop Header: Depth=1
	v_ashrrev_i32_e32 v11, 31, v10
	v_lshlrev_b64 v[28:29], 1, v[10:11]
	v_add_co_u32_e32 v30, vcc, s12, v28
	v_addc_co_u32_e32 v31, vcc, v23, v29, vcc
	v_add_co_u32_e32 v32, vcc, s14, v28
	v_addc_co_u32_e32 v33, vcc, v24, v29, vcc
	global_load_dwordx2 v[30:31], v[30:31], off
	v_add_u32_e32 v27, -4, v27
	global_load_dwordx2 v[32:33], v[32:33], off
	v_cmp_eq_u32_e32 vcc, 0, v27
	s_or_b64 s[4:5], vcc, s[4:5]
	v_add_co_u32_e64 v28, s[0:1], s8, v28
	v_addc_co_u32_e64 v29, s[0:1], v26, v29, s[0:1]
	v_add_u32_e32 v10, 4, v10
	s_waitcnt vmcnt(1)
	v_and_b32_e32 v35, 0xffff0000, v30
	v_lshlrev_b32_e32 v34, 16, v30
	v_and_b32_e32 v37, 0xffff0000, v31
	v_lshlrev_b32_e32 v36, 16, v31
	s_waitcnt vmcnt(0)
	v_and_b32_e32 v31, 0xffff0000, v32
	v_lshlrev_b32_e32 v30, 16, v32
	v_pk_mul_f32 v[30:31], v[8:9], v[30:31]
	v_and_b32_e32 v39, 0xffff0000, v33
	v_lshlrev_b32_e32 v38, 16, v33
	v_pk_mul_f32 v[30:31], v[0:1], v[30:31]
	v_pk_mul_f32 v[32:33], v[12:13], v[38:39]
	v_pk_fma_f32 v[30:31], v[6:7], v[34:35], v[30:31] neg_lo:[0,0,1] neg_hi:[0,0,1]
	v_pk_mul_f32 v[32:33], v[14:15], v[32:33]
	v_pk_mul_f32 v[30:31], v[30:31], v[4:5]
	v_pk_fma_f32 v[32:33], v[16:17], v[36:37], v[32:33] neg_lo:[0,0,1] neg_hi:[0,0,1]
	v_bfe_u32 v11, v30, 16, 1
	v_pk_mul_f32 v[32:33], v[32:33], v[18:19]
	v_bfe_u32 v34, v31, 16, 1
	v_add3_u32 v11, v30, v11, s6
	v_bfe_u32 v35, v32, 16, 1
	v_add3_u32 v34, v31, v34, s6
	v_lshrrev_b32_e32 v11, 16, v11
	v_cmp_o_f32_e32 vcc, v30, v30
	v_bfe_u32 v36, v33, 16, 1
	v_add3_u32 v35, v32, v35, s6
	v_lshrrev_b32_e32 v34, 16, v34
	v_cndmask_b32_e32 v11, v25, v11, vcc
	v_cmp_o_f32_e32 vcc, v31, v31
	v_add3_u32 v36, v33, v36, s6
	v_lshrrev_b32_e32 v35, 16, v35
	v_cndmask_b32_e32 v30, v25, v34, vcc
	v_cmp_o_f32_e32 vcc, v32, v32
	v_lshrrev_b32_e32 v36, 16, v36
	v_cndmask_b32_e32 v31, v25, v35, vcc
	v_cmp_o_f32_e32 vcc, v33, v33
	v_cndmask_b32_e32 v32, v25, v36, vcc
	v_perm_b32 v30, v30, v11, s7
	v_perm_b32 v31, v32, v31, s7
	global_store_dwordx2 v[28:29], v[30:31], off
	s_andn2_b64 exec, exec, s[4:5]
	s_cbranch_execnz .LBB10_21
; %bb.22:
	s_or_b64 exec, exec, s[4:5]
	v_cmp_ne_u32_e32 vcc, v21, v22
	v_add_u32_e32 v20, v20, v22
	s_orn2_b64 s[0:1], vcc, exec
.LBB10_23:
	s_or_b64 exec, exec, s[2:3]
	s_and_b64 exec, exec, s[0:1]
	s_cbranch_execz .LBB10_26
; %bb.24:
	s_ashr_i32 s0, s24, 31
	v_ashrrev_i32_e32 v1, 31, v20
	v_mov_b32_e32 v5, s0
	v_add_co_u32_e32 v6, vcc, s24, v20
	v_addc_co_u32_e32 v7, vcc, v1, v5, vcc
	s_mov_b32 s4, 0
	v_lshlrev_b64 v[6:7], 1, v[6:7]
	s_lshl_b32 s2, s23, 1
	s_mov_b64 s[0:1], 0
	v_mov_b32_e32 v1, s13
	v_mov_b32_e32 v5, s15
	s_movk_i32 s3, 0x7fff
	v_mov_b32_e32 v8, 0x7fc0
	v_mov_b32_e32 v9, s9
	;; [unrolled: 1-line block ×3, first 2 shown]
.LBB10_25:                              ; =>This Inner Loop Header: Depth=1
	v_add_co_u32_e32 v12, vcc, s12, v6
	v_addc_co_u32_e32 v13, vcc, v1, v7, vcc
	v_add_co_u32_e32 v14, vcc, s14, v6
	v_addc_co_u32_e32 v15, vcc, v5, v7, vcc
	global_load_ushort v11, v[14:15], off
	global_load_ushort v16, v[12:13], off
	v_add_co_u32_e32 v12, vcc, s8, v6
	v_addc_co_u32_e32 v13, vcc, v9, v7, vcc
	v_add_co_u32_e32 v6, vcc, s2, v6
	v_add_u32_e32 v20, s23, v20
	v_addc_co_u32_e32 v7, vcc, v7, v10, vcc
	v_cmp_le_i32_e32 vcc, s22, v20
	s_or_b64 s[0:1], vcc, s[0:1]
	s_waitcnt vmcnt(1)
	v_lshlrev_b32_e32 v15, 16, v11
	s_waitcnt vmcnt(0)
	v_lshlrev_b32_e32 v14, 16, v16
	v_pk_mul_f32 v[14:15], v[2:3], v[14:15]
	v_fma_f32 v11, -v0, v15, v14
	v_mul_f32_e32 v11, v11, v4
	v_bfe_u32 v14, v11, 16, 1
	v_add3_u32 v14, v11, v14, s3
	v_lshrrev_b32_e32 v14, 16, v14
	v_cmp_o_f32_e32 vcc, v11, v11
	v_cndmask_b32_e32 v11, v8, v14, vcc
	global_store_short v[12:13], v11, off
	s_andn2_b64 exec, exec, s[0:1]
	s_cbranch_execnz .LBB10_25
.LBB10_26:
	s_endpgm
	.section	.rodata,"a",@progbits
	.p2align	6, 0x0
	.amdhsa_kernel _ZN2at6native12_GLOBAL__N_132weight_norm_bwd_first_dim_kernelIN3c108BFloat16EfEEvPT_S6_PKS5_S8_S8_PKT0_i
		.amdhsa_group_segment_fixed_size 0
		.amdhsa_private_segment_fixed_size 0
		.amdhsa_kernarg_size 312
		.amdhsa_user_sgpr_count 6
		.amdhsa_user_sgpr_private_segment_buffer 1
		.amdhsa_user_sgpr_dispatch_ptr 0
		.amdhsa_user_sgpr_queue_ptr 0
		.amdhsa_user_sgpr_kernarg_segment_ptr 1
		.amdhsa_user_sgpr_dispatch_id 0
		.amdhsa_user_sgpr_flat_scratch_init 0
		.amdhsa_user_sgpr_kernarg_preload_length 0
		.amdhsa_user_sgpr_kernarg_preload_offset 0
		.amdhsa_user_sgpr_private_segment_size 0
		.amdhsa_uses_dynamic_stack 0
		.amdhsa_system_sgpr_private_segment_wavefront_offset 0
		.amdhsa_system_sgpr_workgroup_id_x 1
		.amdhsa_system_sgpr_workgroup_id_y 0
		.amdhsa_system_sgpr_workgroup_id_z 0
		.amdhsa_system_sgpr_workgroup_info 0
		.amdhsa_system_vgpr_workitem_id 1
		.amdhsa_next_free_vgpr 40
		.amdhsa_next_free_sgpr 26
		.amdhsa_accum_offset 40
		.amdhsa_reserve_vcc 1
		.amdhsa_reserve_flat_scratch 0
		.amdhsa_float_round_mode_32 0
		.amdhsa_float_round_mode_16_64 0
		.amdhsa_float_denorm_mode_32 3
		.amdhsa_float_denorm_mode_16_64 3
		.amdhsa_dx10_clamp 1
		.amdhsa_ieee_mode 1
		.amdhsa_fp16_overflow 0
		.amdhsa_tg_split 0
		.amdhsa_exception_fp_ieee_invalid_op 0
		.amdhsa_exception_fp_denorm_src 0
		.amdhsa_exception_fp_ieee_div_zero 0
		.amdhsa_exception_fp_ieee_overflow 0
		.amdhsa_exception_fp_ieee_underflow 0
		.amdhsa_exception_fp_ieee_inexact 0
		.amdhsa_exception_int_div_zero 0
	.end_amdhsa_kernel
	.section	.text._ZN2at6native12_GLOBAL__N_132weight_norm_bwd_first_dim_kernelIN3c108BFloat16EfEEvPT_S6_PKS5_S8_S8_PKT0_i,"axG",@progbits,_ZN2at6native12_GLOBAL__N_132weight_norm_bwd_first_dim_kernelIN3c108BFloat16EfEEvPT_S6_PKS5_S8_S8_PKT0_i,comdat
.Lfunc_end10:
	.size	_ZN2at6native12_GLOBAL__N_132weight_norm_bwd_first_dim_kernelIN3c108BFloat16EfEEvPT_S6_PKS5_S8_S8_PKT0_i, .Lfunc_end10-_ZN2at6native12_GLOBAL__N_132weight_norm_bwd_first_dim_kernelIN3c108BFloat16EfEEvPT_S6_PKS5_S8_S8_PKT0_i
                                        ; -- End function
	.section	.AMDGPU.csdata,"",@progbits
; Kernel info:
; codeLenInByte = 1792
; NumSgprs: 30
; NumVgprs: 40
; NumAgprs: 0
; TotalNumVgprs: 40
; ScratchSize: 0
; MemoryBound: 0
; FloatMode: 240
; IeeeMode: 1
; LDSByteSize: 0 bytes/workgroup (compile time only)
; SGPRBlocks: 3
; VGPRBlocks: 4
; NumSGPRsForWavesPerEU: 30
; NumVGPRsForWavesPerEU: 40
; AccumOffset: 40
; Occupancy: 8
; WaveLimiterHint : 0
; COMPUTE_PGM_RSRC2:SCRATCH_EN: 0
; COMPUTE_PGM_RSRC2:USER_SGPR: 6
; COMPUTE_PGM_RSRC2:TRAP_HANDLER: 0
; COMPUTE_PGM_RSRC2:TGID_X_EN: 1
; COMPUTE_PGM_RSRC2:TGID_Y_EN: 0
; COMPUTE_PGM_RSRC2:TGID_Z_EN: 0
; COMPUTE_PGM_RSRC2:TIDIG_COMP_CNT: 1
; COMPUTE_PGM_RSRC3_GFX90A:ACCUM_OFFSET: 9
; COMPUTE_PGM_RSRC3_GFX90A:TG_SPLIT: 0
	.section	.text._ZN2at6native12_GLOBAL__N_132weight_norm_bwd_first_dim_kernelIN3c104HalfEfEEvPT_S6_PKS5_S8_S8_PKT0_i,"axG",@progbits,_ZN2at6native12_GLOBAL__N_132weight_norm_bwd_first_dim_kernelIN3c104HalfEfEEvPT_S6_PKS5_S8_S8_PKT0_i,comdat
	.globl	_ZN2at6native12_GLOBAL__N_132weight_norm_bwd_first_dim_kernelIN3c104HalfEfEEvPT_S6_PKS5_S8_S8_PKT0_i ; -- Begin function _ZN2at6native12_GLOBAL__N_132weight_norm_bwd_first_dim_kernelIN3c104HalfEfEEvPT_S6_PKS5_S8_S8_PKT0_i
	.p2align	8
	.type	_ZN2at6native12_GLOBAL__N_132weight_norm_bwd_first_dim_kernelIN3c104HalfEfEEvPT_S6_PKS5_S8_S8_PKT0_i,@function
_ZN2at6native12_GLOBAL__N_132weight_norm_bwd_first_dim_kernelIN3c104HalfEfEEvPT_S6_PKS5_S8_S8_PKT0_i: ; @_ZN2at6native12_GLOBAL__N_132weight_norm_bwd_first_dim_kernelIN3c104HalfEfEEvPT_S6_PKS5_S8_S8_PKT0_i
; %bb.0:
	s_load_dwordx4 s[16:19], s[4:5], 0x20
	s_load_dword s22, s[4:5], 0x30
	s_load_dword s0, s[4:5], 0x44
	s_load_dwordx8 s[8:15], s[4:5], 0x0
	v_and_b32_e32 v18, 0x3ff, v0
	s_add_u32 s2, s4, 56
	s_addc_u32 s3, s5, 0
	s_waitcnt lgkmcnt(0)
	s_and_b32 s23, s0, 0xffff
	s_mul_i32 s24, s6, s22
	v_cmp_gt_i32_e64 s[0:1], s22, v18
	v_mov_b32_e32 v1, 0
	s_and_saveexec_b64 s[4:5], s[0:1]
	s_cbranch_execz .LBB11_4
; %bb.1:
	v_add_u32_e32 v2, s24, v18
	v_ashrrev_i32_e32 v3, 31, v2
	s_mov_b32 s25, 0
	v_lshlrev_b64 v[2:3], 1, v[2:3]
	s_lshl_b32 s7, s23, 1
	s_mov_b64 s[20:21], 0
	v_mov_b32_e32 v1, 0
	v_mov_b32_e32 v4, s13
	;; [unrolled: 1-line block ×5, first 2 shown]
.LBB11_2:                               ; =>This Inner Loop Header: Depth=1
	v_add_co_u32_e32 v8, vcc, s12, v2
	v_addc_co_u32_e32 v9, vcc, v4, v3, vcc
	v_add_co_u32_e32 v10, vcc, s14, v2
	v_addc_co_u32_e32 v11, vcc, v5, v3, vcc
	global_load_ushort v12, v[8:9], off
	global_load_ushort v13, v[10:11], off
	v_add_co_u32_e32 v2, vcc, s7, v2
	v_add_u32_e32 v7, s23, v7
	v_addc_co_u32_e32 v3, vcc, v3, v6, vcc
	v_cmp_le_i32_e32 vcc, s22, v7
	s_or_b64 s[20:21], vcc, s[20:21]
	s_waitcnt vmcnt(0)
	v_fma_mix_f32 v1, v12, v13, v1 op_sel_hi:[1,1,0]
	s_andn2_b64 exec, exec, s[20:21]
	s_cbranch_execnz .LBB11_2
; %bb.3:
	s_or_b64 exec, exec, s[20:21]
.LBB11_4:
	s_or_b64 exec, exec, s[4:5]
	s_load_dword s2, s[2:3], 0xc
	v_bfe_u32 v0, v0, 10, 10
	v_mad_u32_u24 v0, v0, s23, v18
	s_waitcnt lgkmcnt(0)
	s_lshr_b32 s2, s2, 16
	s_mul_i32 s2, s2, s23
	s_cmp_gt_i32 s2, 63
	s_cselect_b64 s[4:5], -1, 0
	s_cmp_lt_i32 s2, 64
	s_cbranch_scc1 .LBB11_6
; %bb.5:
	v_lshl_add_u32 v2, v0, 2, 0
	ds_write_b32 v2, v1
	s_waitcnt lgkmcnt(0)
	s_barrier
.LBB11_6:
	s_ashr_i32 s7, s2, 1
	s_cmp_lt_i32 s7, 64
	s_cbranch_scc1 .LBB11_11
; %bb.7:
	v_lshl_add_u32 v2, v0, 2, 0
	s_branch .LBB11_9
.LBB11_8:                               ;   in Loop: Header=BB11_9 Depth=1
	s_or_b64 exec, exec, s[2:3]
	s_lshr_b32 s2, s7, 1
	s_cmpk_lt_u32 s7, 0x80
	s_mov_b32 s7, s2
	s_waitcnt lgkmcnt(0)
	s_barrier
	s_cbranch_scc1 .LBB11_11
.LBB11_9:                               ; =>This Inner Loop Header: Depth=1
	v_cmp_gt_i32_e32 vcc, s7, v0
	s_and_saveexec_b64 s[2:3], vcc
	s_cbranch_execz .LBB11_8
; %bb.10:                               ;   in Loop: Header=BB11_9 Depth=1
	v_lshl_add_u32 v3, s7, 2, v2
	ds_read_b32 v4, v2
	ds_read_b32 v3, v3
	s_waitcnt lgkmcnt(0)
	v_add_f32_e32 v3, v4, v3
	ds_write_b32 v2, v3
	s_branch .LBB11_8
.LBB11_11:
	v_cmp_gt_u32_e32 vcc, 32, v0
	s_and_saveexec_b64 s[2:3], vcc
	s_cbranch_execz .LBB11_16
; %bb.12:
	s_andn2_b64 vcc, exec, s[4:5]
	s_cbranch_vccnz .LBB11_14
; %bb.13:
	v_lshl_add_u32 v1, v0, 2, 0
	ds_read2_b32 v[2:3], v1 offset1:32
	s_waitcnt lgkmcnt(0)
	v_add_f32_e32 v1, v2, v3
.LBB11_14:
	v_mbcnt_lo_u32_b32 v2, -1, 0
	v_mbcnt_hi_u32_b32 v2, -1, v2
	v_and_b32_e32 v3, 63, v2
	v_cmp_gt_u32_e32 vcc, 48, v3
	v_cndmask_b32_e64 v4, 0, 1, vcc
	v_lshlrev_b32_e32 v4, 4, v4
	v_add_lshl_u32 v4, v4, v2, 2
	ds_bpermute_b32 v4, v4, v1
	v_cmp_gt_u32_e32 vcc, 56, v3
	v_cndmask_b32_e64 v5, 0, 1, vcc
	v_lshlrev_b32_e32 v5, 3, v5
	v_cmp_gt_u32_e32 vcc, 60, v3
	s_waitcnt lgkmcnt(0)
	v_add_f32_e32 v1, v1, v4
	v_add_lshl_u32 v4, v5, v2, 2
	ds_bpermute_b32 v4, v4, v1
	v_cndmask_b32_e64 v5, 0, 1, vcc
	v_lshlrev_b32_e32 v5, 2, v5
	v_cmp_gt_u32_e32 vcc, 62, v3
	s_waitcnt lgkmcnt(0)
	v_add_f32_e32 v1, v1, v4
	v_add_lshl_u32 v4, v5, v2, 2
	ds_bpermute_b32 v4, v4, v1
	v_cndmask_b32_e64 v5, 0, 1, vcc
	v_lshlrev_b32_e32 v5, 1, v5
	v_cmp_ne_u32_e32 vcc, 63, v3
	s_waitcnt lgkmcnt(0)
	v_add_f32_e32 v1, v1, v4
	v_add_lshl_u32 v4, v5, v2, 2
	ds_bpermute_b32 v4, v4, v1
	v_addc_co_u32_e32 v2, vcc, 0, v2, vcc
	v_lshlrev_b32_e32 v2, 2, v2
	v_cmp_eq_u32_e32 vcc, 0, v0
	s_waitcnt lgkmcnt(0)
	v_add_f32_e32 v1, v1, v4
	ds_bpermute_b32 v2, v2, v1
	s_and_b64 exec, exec, vcc
	s_cbranch_execz .LBB11_16
; %bb.15:
	s_waitcnt lgkmcnt(0)
	v_add_f32_e32 v0, v1, v2
	v_mov_b32_e32 v1, 0
	ds_write_b32 v1, v0
.LBB11_16:
	s_or_b64 exec, exec, s[2:3]
	s_ashr_i32 s7, s6, 31
	s_lshl_b64 s[2:3], s[6:7], 2
	s_add_u32 s2, s18, s2
	s_addc_u32 s3, s19, s3
	s_waitcnt lgkmcnt(0)
	s_barrier
	s_load_dword s4, s[2:3], 0x0
	v_mov_b32_e32 v1, 0
	ds_read_b32 v0, v1
	s_waitcnt lgkmcnt(0)
	v_div_scale_f32 v2, s[2:3], s4, s4, 1.0
	v_rcp_f32_e32 v3, v2
	v_fma_f32 v4, -v2, v3, 1.0
	v_fmac_f32_e32 v3, v4, v3
	v_div_scale_f32 v4, vcc, 1.0, s4, 1.0
	v_mul_f32_e32 v5, v4, v3
	v_fma_f32 v6, -v2, v5, v4
	v_fmac_f32_e32 v5, v6, v3
	v_fma_f32 v2, -v2, v5, v4
	v_div_fmas_f32 v2, v2, v3, v5
	v_div_fixup_f32 v2, v2, s4, 1.0
	v_cmp_eq_u32_e32 vcc, 0, v18
	s_and_saveexec_b64 s[2:3], vcc
	s_cbranch_execz .LBB11_18
; %bb.17:
	s_lshl_b64 s[4:5], s[6:7], 1
	s_add_u32 s4, s10, s4
	s_addc_u32 s5, s11, s5
	v_fma_mixlo_f16 v3, v0, v2, 0
	global_store_short v1, v3, s[4:5]
.LBB11_18:
	s_or_b64 exec, exec, s[2:3]
	s_and_saveexec_b64 s[2:3], s[0:1]
	s_cbranch_execz .LBB11_26
; %bb.19:
	s_lshl_b64 s[0:1], s[6:7], 1
	s_add_u32 s0, s16, s0
	s_addc_u32 s1, s17, s1
	v_mov_b32_e32 v1, 0
	global_load_ushort v1, v1, s[0:1]
	v_cvt_f32_u32_e32 v3, s23
	v_add_u32_e32 v5, s23, v18
	v_mov_b32_e32 v6, s23
	v_cmp_gt_i32_e32 vcc, s22, v5
	v_rcp_iflag_f32_e32 v3, v3
	v_max_i32_e32 v7, s22, v5
	v_addc_co_u32_e64 v5, s[0:1], v18, v6, vcc
	v_mul_f32_e32 v3, 0x4f7ffffe, v3
	v_cvt_u32_f32_e32 v3, v3
	s_sub_i32 s0, 0, s23
	v_sub_u32_e32 v5, v7, v5
	s_cmp_eq_u32 s23, 1
	v_mul_lo_u32 v6, s0, v3
	v_mul_hi_u32 v6, v3, v6
	v_add_u32_e32 v3, v3, v6
	v_mul_hi_u32 v3, v5, v3
	v_mul_lo_u32 v6, v3, s23
	v_sub_u32_e32 v5, v5, v6
	v_add_u32_e32 v7, 1, v3
	v_cmp_le_u32_e64 s[0:1], s23, v5
	v_subrev_u32_e32 v6, s23, v5
	v_cndmask_b32_e64 v3, v3, v7, s[0:1]
	v_cndmask_b32_e64 v5, v5, v6, s[0:1]
	v_add_u32_e32 v6, 1, v3
	v_cmp_le_u32_e64 s[0:1], s23, v5
	v_cndmask_b32_e64 v3, v3, v6, s[0:1]
	v_addc_co_u32_e32 v19, vcc, 1, v3, vcc
	v_mul_f32_e32 v4, v2, v2
	v_cmp_lt_u32_e32 vcc, 3, v19
	s_cselect_b64 s[0:1], -1, 0
	v_mul_f32_e32 v4, v2, v4
	s_and_b64 s[4:5], vcc, s[0:1]
	s_mov_b64 s[0:1], -1
	s_waitcnt vmcnt(0)
	v_cvt_f32_f16_e32 v6, v1
	s_and_saveexec_b64 s[2:3], s[4:5]
	s_cbranch_execz .LBB11_23
; %bb.20:
	v_and_b32_e32 v20, -4, v19
	v_mov_b32_e32 v3, v2
	v_mov_b32_e32 v5, v4
	;; [unrolled: 1-line block ×4, first 2 shown]
	v_add_u32_e32 v8, s24, v18
	s_mov_b64 s[4:5], 0
	v_mov_b32_e32 v21, s13
	v_mov_b32_e32 v22, s15
	;; [unrolled: 1-line block ×12, first 2 shown]
.LBB11_21:                              ; =>This Inner Loop Header: Depth=1
	v_ashrrev_i32_e32 v9, 31, v8
	v_lshlrev_b64 v[26:27], 1, v[8:9]
	v_add_co_u32_e32 v28, vcc, s12, v26
	v_addc_co_u32_e32 v29, vcc, v21, v27, vcc
	v_add_co_u32_e32 v30, vcc, s14, v26
	v_addc_co_u32_e32 v31, vcc, v22, v27, vcc
	global_load_dwordx2 v[30:31], v[30:31], off
	v_add_u32_e32 v24, -4, v24
	global_load_dwordx2 v[28:29], v[28:29], off
	v_cmp_eq_u32_e32 vcc, 0, v24
	v_add_co_u32_e64 v26, s[0:1], s8, v26
	v_addc_co_u32_e64 v27, s[0:1], v23, v27, s[0:1]
	s_or_b64 s[4:5], vcc, s[4:5]
	v_add_u32_e32 v8, 4, v8
	s_waitcnt vmcnt(1)
	v_cvt_f32_f16_e32 v34, v30
	v_cvt_f32_f16_e32 v36, v31
	v_cvt_f32_f16_sdwa v37, v31 dst_sel:DWORD dst_unused:UNUSED_PAD src0_sel:WORD_1
	v_cvt_f32_f16_sdwa v35, v30 dst_sel:DWORD dst_unused:UNUSED_PAD src0_sel:WORD_1
	s_waitcnt vmcnt(0)
	v_cvt_f32_f16_e32 v32, v28
	v_cvt_f32_f16_sdwa v33, v28 dst_sel:DWORD dst_unused:UNUSED_PAD src0_sel:WORD_1
	v_cvt_f32_f16_e32 v28, v29
	v_cvt_f32_f16_sdwa v29, v29 dst_sel:DWORD dst_unused:UNUSED_PAD src0_sel:WORD_1
	v_pk_mul_f32 v[30:31], v[10:11], v[36:37]
	v_pk_mul_f32 v[34:35], v[4:5], v[34:35]
	;; [unrolled: 1-line block ×4, first 2 shown]
	v_pk_fma_f32 v[28:29], v[14:15], v[28:29], v[30:31] neg_lo:[0,0,1] neg_hi:[0,0,1]
	v_pk_fma_f32 v[30:31], v[2:3], v[32:33], v[34:35] neg_lo:[0,0,1] neg_hi:[0,0,1]
	v_pk_mul_f32 v[30:31], v[30:31], v[6:7]
	v_pk_mul_f32 v[28:29], v[28:29], v[16:17]
	v_cvt_f16_f32_e32 v9, v29
	v_cvt_f16_f32_e32 v25, v28
	v_cvt_f16_f32_e32 v28, v31
	v_cvt_f16_f32_e32 v30, v30
	v_pack_b32_f16 v29, v25, v9
	v_pack_b32_f16 v28, v30, v28
	global_store_dwordx2 v[26:27], v[28:29], off
	s_andn2_b64 exec, exec, s[4:5]
	s_cbranch_execnz .LBB11_21
; %bb.22:
	s_or_b64 exec, exec, s[4:5]
	v_cmp_ne_u32_e32 vcc, v19, v20
	v_add_u32_e32 v18, v18, v20
	s_orn2_b64 s[0:1], vcc, exec
.LBB11_23:
	s_or_b64 exec, exec, s[2:3]
	s_and_b64 exec, exec, s[0:1]
	s_cbranch_execz .LBB11_26
; %bb.24:
	s_ashr_i32 s0, s24, 31
	v_ashrrev_i32_e32 v1, 31, v18
	v_mov_b32_e32 v3, s0
	v_add_co_u32_e32 v8, vcc, s24, v18
	v_addc_co_u32_e32 v9, vcc, v1, v3, vcc
	s_mov_b32 s3, 0
	v_lshlrev_b64 v[8:9], 1, v[8:9]
	s_lshl_b32 s2, s23, 1
	s_mov_b64 s[0:1], 0
	v_mov_b32_e32 v1, s13
	v_mov_b32_e32 v3, s15
	;; [unrolled: 1-line block ×4, first 2 shown]
.LBB11_25:                              ; =>This Inner Loop Header: Depth=1
	v_add_co_u32_e32 v10, vcc, s14, v8
	v_addc_co_u32_e32 v11, vcc, v3, v9, vcc
	global_load_ushort v12, v[10:11], off
	v_add_co_u32_e32 v10, vcc, s12, v8
	v_addc_co_u32_e32 v11, vcc, v1, v9, vcc
	global_load_ushort v13, v[10:11], off
	v_add_co_u32_e32 v10, vcc, s8, v8
	v_addc_co_u32_e32 v11, vcc, v5, v9, vcc
	v_add_co_u32_e32 v8, vcc, s2, v8
	v_add_u32_e32 v18, s23, v18
	v_addc_co_u32_e32 v9, vcc, v9, v7, vcc
	v_cmp_le_i32_e32 vcc, s22, v18
	s_or_b64 s[0:1], vcc, s[0:1]
	s_waitcnt vmcnt(1)
	v_cvt_f32_f16_e32 v12, v12
	v_mul_f32_e32 v12, v4, v12
	v_mul_f32_e32 v12, v0, v12
	s_waitcnt vmcnt(0)
	v_fma_mix_f32 v12, v2, v13, -v12 op_sel_hi:[0,1,0]
	v_fma_mixlo_f16 v12, v12, v6, 0
	global_store_short v[10:11], v12, off
	s_andn2_b64 exec, exec, s[0:1]
	s_cbranch_execnz .LBB11_25
.LBB11_26:
	s_endpgm
	.section	.rodata,"a",@progbits
	.p2align	6, 0x0
	.amdhsa_kernel _ZN2at6native12_GLOBAL__N_132weight_norm_bwd_first_dim_kernelIN3c104HalfEfEEvPT_S6_PKS5_S8_S8_PKT0_i
		.amdhsa_group_segment_fixed_size 0
		.amdhsa_private_segment_fixed_size 0
		.amdhsa_kernarg_size 312
		.amdhsa_user_sgpr_count 6
		.amdhsa_user_sgpr_private_segment_buffer 1
		.amdhsa_user_sgpr_dispatch_ptr 0
		.amdhsa_user_sgpr_queue_ptr 0
		.amdhsa_user_sgpr_kernarg_segment_ptr 1
		.amdhsa_user_sgpr_dispatch_id 0
		.amdhsa_user_sgpr_flat_scratch_init 0
		.amdhsa_user_sgpr_kernarg_preload_length 0
		.amdhsa_user_sgpr_kernarg_preload_offset 0
		.amdhsa_user_sgpr_private_segment_size 0
		.amdhsa_uses_dynamic_stack 0
		.amdhsa_system_sgpr_private_segment_wavefront_offset 0
		.amdhsa_system_sgpr_workgroup_id_x 1
		.amdhsa_system_sgpr_workgroup_id_y 0
		.amdhsa_system_sgpr_workgroup_id_z 0
		.amdhsa_system_sgpr_workgroup_info 0
		.amdhsa_system_vgpr_workitem_id 1
		.amdhsa_next_free_vgpr 38
		.amdhsa_next_free_sgpr 26
		.amdhsa_accum_offset 40
		.amdhsa_reserve_vcc 1
		.amdhsa_reserve_flat_scratch 0
		.amdhsa_float_round_mode_32 0
		.amdhsa_float_round_mode_16_64 0
		.amdhsa_float_denorm_mode_32 3
		.amdhsa_float_denorm_mode_16_64 3
		.amdhsa_dx10_clamp 1
		.amdhsa_ieee_mode 1
		.amdhsa_fp16_overflow 0
		.amdhsa_tg_split 0
		.amdhsa_exception_fp_ieee_invalid_op 0
		.amdhsa_exception_fp_denorm_src 0
		.amdhsa_exception_fp_ieee_div_zero 0
		.amdhsa_exception_fp_ieee_overflow 0
		.amdhsa_exception_fp_ieee_underflow 0
		.amdhsa_exception_fp_ieee_inexact 0
		.amdhsa_exception_int_div_zero 0
	.end_amdhsa_kernel
	.section	.text._ZN2at6native12_GLOBAL__N_132weight_norm_bwd_first_dim_kernelIN3c104HalfEfEEvPT_S6_PKS5_S8_S8_PKT0_i,"axG",@progbits,_ZN2at6native12_GLOBAL__N_132weight_norm_bwd_first_dim_kernelIN3c104HalfEfEEvPT_S6_PKS5_S8_S8_PKT0_i,comdat
.Lfunc_end11:
	.size	_ZN2at6native12_GLOBAL__N_132weight_norm_bwd_first_dim_kernelIN3c104HalfEfEEvPT_S6_PKS5_S8_S8_PKT0_i, .Lfunc_end11-_ZN2at6native12_GLOBAL__N_132weight_norm_bwd_first_dim_kernelIN3c104HalfEfEEvPT_S6_PKS5_S8_S8_PKT0_i
                                        ; -- End function
	.section	.AMDGPU.csdata,"",@progbits
; Kernel info:
; codeLenInByte = 1584
; NumSgprs: 30
; NumVgprs: 38
; NumAgprs: 0
; TotalNumVgprs: 38
; ScratchSize: 0
; MemoryBound: 0
; FloatMode: 240
; IeeeMode: 1
; LDSByteSize: 0 bytes/workgroup (compile time only)
; SGPRBlocks: 3
; VGPRBlocks: 4
; NumSGPRsForWavesPerEU: 30
; NumVGPRsForWavesPerEU: 38
; AccumOffset: 40
; Occupancy: 8
; WaveLimiterHint : 0
; COMPUTE_PGM_RSRC2:SCRATCH_EN: 0
; COMPUTE_PGM_RSRC2:USER_SGPR: 6
; COMPUTE_PGM_RSRC2:TRAP_HANDLER: 0
; COMPUTE_PGM_RSRC2:TGID_X_EN: 1
; COMPUTE_PGM_RSRC2:TGID_Y_EN: 0
; COMPUTE_PGM_RSRC2:TGID_Z_EN: 0
; COMPUTE_PGM_RSRC2:TIDIG_COMP_CNT: 1
; COMPUTE_PGM_RSRC3_GFX90A:ACCUM_OFFSET: 9
; COMPUTE_PGM_RSRC3_GFX90A:TG_SPLIT: 0
	.section	.text._ZN2at6native12_GLOBAL__N_131weight_norm_bwd_last_dim_kernelIddEEvPT_S4_PKS3_S6_S6_PKT0_ii,"axG",@progbits,_ZN2at6native12_GLOBAL__N_131weight_norm_bwd_last_dim_kernelIddEEvPT_S4_PKS3_S6_S6_PKT0_ii,comdat
	.globl	_ZN2at6native12_GLOBAL__N_131weight_norm_bwd_last_dim_kernelIddEEvPT_S4_PKS3_S6_S6_PKT0_ii ; -- Begin function _ZN2at6native12_GLOBAL__N_131weight_norm_bwd_last_dim_kernelIddEEvPT_S4_PKS3_S6_S6_PKT0_ii
	.p2align	8
	.type	_ZN2at6native12_GLOBAL__N_131weight_norm_bwd_last_dim_kernelIddEEvPT_S4_PKS3_S6_S6_PKT0_ii,@function
_ZN2at6native12_GLOBAL__N_131weight_norm_bwd_last_dim_kernelIddEEvPT_S4_PKS3_S6_S6_PKT0_ii: ; @_ZN2at6native12_GLOBAL__N_131weight_norm_bwd_last_dim_kernelIddEEvPT_S4_PKS3_S6_S6_PKT0_ii
; %bb.0:
	s_load_dword s0, s[4:5], 0x44
	s_load_dwordx8 s[8:15], s[4:5], 0x0
	s_load_dwordx4 s[16:19], s[4:5], 0x20
	s_load_dwordx2 s[2:3], s[4:5], 0x30
	v_and_b32_e32 v8, 0x3ff, v0
	s_waitcnt lgkmcnt(0)
	s_and_b32 s21, s0, 0xffff
	s_mul_i32 s6, s6, s21
	v_add_u32_e32 v2, s6, v8
	v_bfe_u32 v10, v0, 10, 10
	s_lshr_b32 s20, s0, 16
	v_mad_u64_u32 v[0:1], s[0:1], v10, s2, v[2:3]
	v_cmp_gt_i32_e32 vcc, s2, v2
	v_cmp_gt_i32_e64 s[0:1], s3, v10
	s_and_b64 s[0:1], vcc, s[0:1]
	v_pk_mov_b32 v[4:5], 0, 0
	s_mul_i32 s2, s20, s2
	s_and_saveexec_b64 s[4:5], s[0:1]
	s_cbranch_execz .LBB12_4
; %bb.1:
	s_mov_b64 s[6:7], 0
	v_pk_mov_b32 v[4:5], 0, 0
	v_mov_b32_e32 v1, s13
	v_mov_b32_e32 v3, s15
	;; [unrolled: 1-line block ×4, first 2 shown]
.LBB12_2:                               ; =>This Inner Loop Header: Depth=1
	v_ashrrev_i32_e32 v7, 31, v6
	v_lshlrev_b64 v[12:13], 3, v[6:7]
	v_add_co_u32_e32 v14, vcc, s12, v12
	v_addc_co_u32_e32 v15, vcc, v1, v13, vcc
	v_add_co_u32_e32 v12, vcc, s14, v12
	v_addc_co_u32_e32 v13, vcc, v3, v13, vcc
	global_load_dwordx2 v[14:15], v[14:15], off
	v_add_u32_e32 v9, s20, v9
	global_load_dwordx2 v[12:13], v[12:13], off
	v_cmp_le_i32_e32 vcc, s3, v9
	s_or_b64 s[6:7], vcc, s[6:7]
	v_add_u32_e32 v6, s2, v6
	s_waitcnt vmcnt(0)
	v_fmac_f64_e32 v[4:5], v[14:15], v[12:13]
	s_andn2_b64 exec, exec, s[6:7]
	s_cbranch_execnz .LBB12_2
; %bb.3:
	s_or_b64 exec, exec, s[6:7]
.LBB12_4:
	s_or_b64 exec, exec, s[4:5]
	s_mul_i32 s4, s20, s21
	v_mad_u32_u24 v3, v10, s21, v8
	s_cmp_gt_i32 s4, 63
	s_cselect_b64 s[6:7], -1, 0
	s_cmp_lt_i32 s4, 64
	v_lshl_add_u32 v1, v3, 3, 0
	s_cbranch_scc1 .LBB12_6
; %bb.5:
	ds_write_b64 v1, v[4:5]
	s_waitcnt lgkmcnt(0)
	s_barrier
.LBB12_6:
	s_ashr_i32 s22, s4, 1
	s_cmp_lt_i32 s22, 64
	s_cbranch_scc0 .LBB12_22
.LBB12_7:
	v_cmp_gt_u32_e32 vcc, 32, v3
	s_and_saveexec_b64 s[4:5], vcc
	s_cbranch_execz .LBB12_15
; %bb.8:
	s_andn2_b64 vcc, exec, s[6:7]
	s_cbranch_vccnz .LBB12_10
; %bb.9:
	ds_read2_b64 v[4:7], v1 offset1:32
	s_waitcnt lgkmcnt(0)
	v_add_f64 v[4:5], v[4:5], v[6:7]
.LBB12_10:
	s_cmp_gt_u32 s21, 16
	s_mov_b32 s6, 16
	s_cbranch_scc1 .LBB12_13
; %bb.11:
	v_mbcnt_lo_u32_b32 v6, -1, 0
	v_mbcnt_hi_u32_b32 v6, -1, v6
	v_and_b32_e32 v7, 63, v6
.LBB12_12:                              ; =>This Inner Loop Header: Depth=1
	v_add_u32_e32 v9, s6, v7
	v_mov_b32_e32 v11, s6
	v_cmp_gt_u32_e32 vcc, 64, v9
	v_cndmask_b32_e32 v9, 0, v11, vcc
	v_add_lshl_u32 v9, v9, v6, 2
	ds_bpermute_b32 v12, v9, v4
	ds_bpermute_b32 v13, v9, v5
	s_lshr_b32 s6, s6, 1
	s_cmp_lt_u32 s6, s21
	s_waitcnt lgkmcnt(0)
	v_add_f64 v[4:5], v[4:5], v[12:13]
	s_cbranch_scc0 .LBB12_12
.LBB12_13:
	v_cmp_gt_u32_e32 vcc, s21, v3
	s_and_b64 exec, exec, vcc
	s_cbranch_execz .LBB12_15
; %bb.14:
	ds_write_b64 v1, v[4:5]
.LBB12_15:
	s_or_b64 exec, exec, s[4:5]
	v_ashrrev_i32_e32 v3, 31, v2
	v_lshlrev_b64 v[6:7], 3, v[2:3]
	v_mov_b32_e32 v1, s19
	v_add_co_u32_e32 v2, vcc, s18, v6
	v_addc_co_u32_e32 v3, vcc, v1, v7, vcc
	s_waitcnt lgkmcnt(0)
	s_barrier
	global_load_dwordx2 v[4:5], v[2:3], off
	v_lshl_add_u32 v1, v8, 3, 0
	ds_read_b64 v[2:3], v1
	s_waitcnt vmcnt(0)
	v_div_scale_f64 v[8:9], s[4:5], v[4:5], v[4:5], 1.0
	v_rcp_f64_e32 v[12:13], v[8:9]
	v_div_scale_f64 v[14:15], vcc, 1.0, v[4:5], 1.0
	v_fma_f64 v[16:17], -v[8:9], v[12:13], 1.0
	v_fmac_f64_e32 v[12:13], v[12:13], v[16:17]
	v_fma_f64 v[16:17], -v[8:9], v[12:13], 1.0
	v_fmac_f64_e32 v[12:13], v[12:13], v[16:17]
	v_mul_f64 v[16:17], v[14:15], v[12:13]
	v_fma_f64 v[8:9], -v[8:9], v[16:17], v[14:15]
	v_div_fmas_f64 v[8:9], v[8:9], v[12:13], v[16:17]
	v_div_fixup_f64 v[4:5], v[8:9], v[4:5], 1.0
	v_cmp_eq_u32_e32 vcc, 0, v10
	s_and_saveexec_b64 s[4:5], vcc
	s_cbranch_execz .LBB12_17
; %bb.16:
	v_mov_b32_e32 v1, s11
	v_add_co_u32_e32 v8, vcc, s10, v6
	v_addc_co_u32_e32 v9, vcc, v1, v7, vcc
	s_waitcnt lgkmcnt(0)
	v_mul_f64 v[12:13], v[2:3], v[4:5]
	global_store_dwordx2 v[8:9], v[12:13], off
.LBB12_17:
	s_or_b64 exec, exec, s[4:5]
	s_and_saveexec_b64 s[4:5], s[0:1]
	s_cbranch_execz .LBB12_20
; %bb.18:
	v_mov_b32_e32 v1, s17
	v_add_co_u32_e32 v6, vcc, s16, v6
	v_addc_co_u32_e32 v7, vcc, v1, v7, vcc
	global_load_dwordx2 v[6:7], v[6:7], off
	v_mul_f64 v[8:9], v[4:5], v[4:5]
	v_mul_f64 v[8:9], v[4:5], v[8:9]
	s_mov_b64 s[4:5], 0
	v_mov_b32_e32 v11, s13
	v_mov_b32_e32 v12, s15
	;; [unrolled: 1-line block ×3, first 2 shown]
.LBB12_19:                              ; =>This Inner Loop Header: Depth=1
	v_ashrrev_i32_e32 v1, 31, v0
	v_lshlrev_b64 v[14:15], 3, v[0:1]
	v_add_co_u32_e32 v16, vcc, s14, v14
	v_addc_co_u32_e32 v17, vcc, v12, v15, vcc
	global_load_dwordx2 v[16:17], v[16:17], off
	v_add_co_u32_e32 v18, vcc, s12, v14
	v_addc_co_u32_e32 v19, vcc, v11, v15, vcc
	global_load_dwordx2 v[18:19], v[18:19], off
	v_add_u32_e32 v10, s20, v10
	v_cmp_le_i32_e32 vcc, s3, v10
	v_add_co_u32_e64 v14, s[0:1], s8, v14
	v_addc_co_u32_e64 v15, s[0:1], v13, v15, s[0:1]
	s_or_b64 s[4:5], vcc, s[4:5]
	v_add_u32_e32 v0, s2, v0
	s_waitcnt vmcnt(1)
	v_mul_f64 v[16:17], v[8:9], v[16:17]
	s_waitcnt lgkmcnt(0)
	v_mul_f64 v[16:17], v[2:3], v[16:17]
	s_waitcnt vmcnt(0)
	v_fma_f64 v[16:17], v[4:5], v[18:19], -v[16:17]
	v_mul_f64 v[16:17], v[6:7], v[16:17]
	global_store_dwordx2 v[14:15], v[16:17], off
	s_andn2_b64 exec, exec, s[4:5]
	s_cbranch_execnz .LBB12_19
.LBB12_20:
	s_endpgm
.LBB12_21:                              ;   in Loop: Header=BB12_22 Depth=1
	s_or_b64 exec, exec, s[4:5]
	s_lshr_b32 s4, s22, 1
	s_cmpk_lt_u32 s22, 0x80
	s_mov_b32 s22, s4
	s_waitcnt lgkmcnt(0)
	s_barrier
	s_cbranch_scc1 .LBB12_7
.LBB12_22:                              ; =>This Inner Loop Header: Depth=1
	v_cmp_gt_i32_e32 vcc, s22, v3
	s_and_saveexec_b64 s[4:5], vcc
	s_cbranch_execz .LBB12_21
; %bb.23:                               ;   in Loop: Header=BB12_22 Depth=1
	v_lshl_add_u32 v9, s22, 3, v1
	ds_read_b64 v[6:7], v1
	ds_read_b64 v[12:13], v9
	s_waitcnt lgkmcnt(0)
	v_add_f64 v[6:7], v[6:7], v[12:13]
	ds_write_b64 v1, v[6:7]
	s_branch .LBB12_21
	.section	.rodata,"a",@progbits
	.p2align	6, 0x0
	.amdhsa_kernel _ZN2at6native12_GLOBAL__N_131weight_norm_bwd_last_dim_kernelIddEEvPT_S4_PKS3_S6_S6_PKT0_ii
		.amdhsa_group_segment_fixed_size 0
		.amdhsa_private_segment_fixed_size 0
		.amdhsa_kernarg_size 312
		.amdhsa_user_sgpr_count 6
		.amdhsa_user_sgpr_private_segment_buffer 1
		.amdhsa_user_sgpr_dispatch_ptr 0
		.amdhsa_user_sgpr_queue_ptr 0
		.amdhsa_user_sgpr_kernarg_segment_ptr 1
		.amdhsa_user_sgpr_dispatch_id 0
		.amdhsa_user_sgpr_flat_scratch_init 0
		.amdhsa_user_sgpr_kernarg_preload_length 0
		.amdhsa_user_sgpr_kernarg_preload_offset 0
		.amdhsa_user_sgpr_private_segment_size 0
		.amdhsa_uses_dynamic_stack 0
		.amdhsa_system_sgpr_private_segment_wavefront_offset 0
		.amdhsa_system_sgpr_workgroup_id_x 1
		.amdhsa_system_sgpr_workgroup_id_y 0
		.amdhsa_system_sgpr_workgroup_id_z 0
		.amdhsa_system_sgpr_workgroup_info 0
		.amdhsa_system_vgpr_workitem_id 1
		.amdhsa_next_free_vgpr 20
		.amdhsa_next_free_sgpr 23
		.amdhsa_accum_offset 20
		.amdhsa_reserve_vcc 1
		.amdhsa_reserve_flat_scratch 0
		.amdhsa_float_round_mode_32 0
		.amdhsa_float_round_mode_16_64 0
		.amdhsa_float_denorm_mode_32 3
		.amdhsa_float_denorm_mode_16_64 3
		.amdhsa_dx10_clamp 1
		.amdhsa_ieee_mode 1
		.amdhsa_fp16_overflow 0
		.amdhsa_tg_split 0
		.amdhsa_exception_fp_ieee_invalid_op 0
		.amdhsa_exception_fp_denorm_src 0
		.amdhsa_exception_fp_ieee_div_zero 0
		.amdhsa_exception_fp_ieee_overflow 0
		.amdhsa_exception_fp_ieee_underflow 0
		.amdhsa_exception_fp_ieee_inexact 0
		.amdhsa_exception_int_div_zero 0
	.end_amdhsa_kernel
	.section	.text._ZN2at6native12_GLOBAL__N_131weight_norm_bwd_last_dim_kernelIddEEvPT_S4_PKS3_S6_S6_PKT0_ii,"axG",@progbits,_ZN2at6native12_GLOBAL__N_131weight_norm_bwd_last_dim_kernelIddEEvPT_S4_PKS3_S6_S6_PKT0_ii,comdat
.Lfunc_end12:
	.size	_ZN2at6native12_GLOBAL__N_131weight_norm_bwd_last_dim_kernelIddEEvPT_S4_PKS3_S6_S6_PKT0_ii, .Lfunc_end12-_ZN2at6native12_GLOBAL__N_131weight_norm_bwd_last_dim_kernelIddEEvPT_S4_PKS3_S6_S6_PKT0_ii
                                        ; -- End function
	.section	.AMDGPU.csdata,"",@progbits
; Kernel info:
; codeLenInByte = 924
; NumSgprs: 27
; NumVgprs: 20
; NumAgprs: 0
; TotalNumVgprs: 20
; ScratchSize: 0
; MemoryBound: 0
; FloatMode: 240
; IeeeMode: 1
; LDSByteSize: 0 bytes/workgroup (compile time only)
; SGPRBlocks: 3
; VGPRBlocks: 2
; NumSGPRsForWavesPerEU: 27
; NumVGPRsForWavesPerEU: 20
; AccumOffset: 20
; Occupancy: 8
; WaveLimiterHint : 0
; COMPUTE_PGM_RSRC2:SCRATCH_EN: 0
; COMPUTE_PGM_RSRC2:USER_SGPR: 6
; COMPUTE_PGM_RSRC2:TRAP_HANDLER: 0
; COMPUTE_PGM_RSRC2:TGID_X_EN: 1
; COMPUTE_PGM_RSRC2:TGID_Y_EN: 0
; COMPUTE_PGM_RSRC2:TGID_Z_EN: 0
; COMPUTE_PGM_RSRC2:TIDIG_COMP_CNT: 1
; COMPUTE_PGM_RSRC3_GFX90A:ACCUM_OFFSET: 4
; COMPUTE_PGM_RSRC3_GFX90A:TG_SPLIT: 0
	.section	.text._ZN2at6native12_GLOBAL__N_131weight_norm_bwd_last_dim_kernelIffEEvPT_S4_PKS3_S6_S6_PKT0_ii,"axG",@progbits,_ZN2at6native12_GLOBAL__N_131weight_norm_bwd_last_dim_kernelIffEEvPT_S4_PKS3_S6_S6_PKT0_ii,comdat
	.globl	_ZN2at6native12_GLOBAL__N_131weight_norm_bwd_last_dim_kernelIffEEvPT_S4_PKS3_S6_S6_PKT0_ii ; -- Begin function _ZN2at6native12_GLOBAL__N_131weight_norm_bwd_last_dim_kernelIffEEvPT_S4_PKS3_S6_S6_PKT0_ii
	.p2align	8
	.type	_ZN2at6native12_GLOBAL__N_131weight_norm_bwd_last_dim_kernelIffEEvPT_S4_PKS3_S6_S6_PKT0_ii,@function
_ZN2at6native12_GLOBAL__N_131weight_norm_bwd_last_dim_kernelIffEEvPT_S4_PKS3_S6_S6_PKT0_ii: ; @_ZN2at6native12_GLOBAL__N_131weight_norm_bwd_last_dim_kernelIffEEvPT_S4_PKS3_S6_S6_PKT0_ii
; %bb.0:
	s_load_dword s0, s[4:5], 0x44
	s_load_dwordx8 s[8:15], s[4:5], 0x0
	s_load_dwordx4 s[16:19], s[4:5], 0x20
	s_load_dwordx2 s[2:3], s[4:5], 0x30
	v_and_b32_e32 v7, 0x3ff, v0
	s_waitcnt lgkmcnt(0)
	s_and_b32 s21, s0, 0xffff
	s_mul_i32 s6, s6, s21
	v_add_u32_e32 v2, s6, v7
	v_bfe_u32 v6, v0, 10, 10
	s_lshr_b32 s20, s0, 16
	v_mad_u64_u32 v[0:1], s[0:1], v6, s2, v[2:3]
	v_cmp_gt_i32_e32 vcc, s2, v2
	v_cmp_gt_i32_e64 s[0:1], s3, v6
	s_and_b64 s[0:1], vcc, s[0:1]
	v_mov_b32_e32 v1, 0
	s_mul_i32 s2, s20, s2
	s_and_saveexec_b64 s[4:5], s[0:1]
	s_cbranch_execz .LBB13_4
; %bb.1:
	s_mov_b64 s[6:7], 0
	v_mov_b32_e32 v1, 0
	v_mov_b32_e32 v3, s13
	;; [unrolled: 1-line block ×5, first 2 shown]
.LBB13_2:                               ; =>This Inner Loop Header: Depth=1
	v_ashrrev_i32_e32 v5, 31, v4
	v_lshlrev_b64 v[10:11], 2, v[4:5]
	v_add_co_u32_e32 v12, vcc, s12, v10
	v_addc_co_u32_e32 v13, vcc, v3, v11, vcc
	v_add_co_u32_e32 v10, vcc, s14, v10
	v_addc_co_u32_e32 v11, vcc, v8, v11, vcc
	global_load_dword v5, v[12:13], off
	v_add_u32_e32 v9, s20, v9
	global_load_dword v10, v[10:11], off
	v_cmp_le_i32_e32 vcc, s3, v9
	s_or_b64 s[6:7], vcc, s[6:7]
	v_add_u32_e32 v4, s2, v4
	s_waitcnt vmcnt(0)
	v_fmac_f32_e32 v1, v5, v10
	s_andn2_b64 exec, exec, s[6:7]
	s_cbranch_execnz .LBB13_2
; %bb.3:
	s_or_b64 exec, exec, s[6:7]
.LBB13_4:
	s_or_b64 exec, exec, s[4:5]
	s_mul_i32 s4, s20, s21
	v_mad_u32_u24 v4, v6, s21, v7
	s_cmp_gt_i32 s4, 63
	s_cselect_b64 s[6:7], -1, 0
	s_cmp_lt_i32 s4, 64
	v_lshl_add_u32 v3, v4, 2, 0
	s_cbranch_scc1 .LBB13_6
; %bb.5:
	ds_write_b32 v3, v1
	s_waitcnt lgkmcnt(0)
	s_barrier
.LBB13_6:
	s_ashr_i32 s22, s4, 1
	s_cmp_lt_i32 s22, 64
	s_cbranch_scc0 .LBB13_22
.LBB13_7:
	v_cmp_gt_u32_e32 vcc, 32, v4
	s_and_saveexec_b64 s[4:5], vcc
	s_cbranch_execz .LBB13_15
; %bb.8:
	s_andn2_b64 vcc, exec, s[6:7]
	s_cbranch_vccnz .LBB13_10
; %bb.9:
	ds_read2_b32 v[8:9], v3 offset1:32
	s_waitcnt lgkmcnt(0)
	v_add_f32_e32 v1, v8, v9
.LBB13_10:
	s_cmp_gt_u32 s21, 16
	s_mov_b32 s6, 16
	s_cbranch_scc1 .LBB13_13
; %bb.11:
	v_mbcnt_lo_u32_b32 v5, -1, 0
	v_mbcnt_hi_u32_b32 v5, -1, v5
	v_and_b32_e32 v8, 63, v5
.LBB13_12:                              ; =>This Inner Loop Header: Depth=1
	v_add_u32_e32 v9, s6, v8
	v_mov_b32_e32 v10, s6
	v_cmp_gt_u32_e32 vcc, 64, v9
	v_cndmask_b32_e32 v9, 0, v10, vcc
	v_add_lshl_u32 v9, v9, v5, 2
	ds_bpermute_b32 v9, v9, v1
	s_lshr_b32 s6, s6, 1
	s_cmp_lt_u32 s6, s21
	s_waitcnt lgkmcnt(0)
	v_add_f32_e32 v1, v1, v9
	s_cbranch_scc0 .LBB13_12
.LBB13_13:
	v_cmp_gt_u32_e32 vcc, s21, v4
	s_and_b64 exec, exec, vcc
	s_cbranch_execz .LBB13_15
; %bb.14:
	ds_write_b32 v3, v1
.LBB13_15:
	s_or_b64 exec, exec, s[4:5]
	v_ashrrev_i32_e32 v3, 31, v2
	v_lshlrev_b64 v[2:3], 2, v[2:3]
	v_mov_b32_e32 v1, s19
	v_add_co_u32_e32 v4, vcc, s18, v2
	v_addc_co_u32_e32 v5, vcc, v1, v3, vcc
	s_waitcnt lgkmcnt(0)
	s_barrier
	global_load_dword v1, v[4:5], off
	v_lshl_add_u32 v4, v7, 2, 0
	ds_read_b32 v4, v4
	s_waitcnt vmcnt(0)
	v_div_scale_f32 v5, s[4:5], v1, v1, 1.0
	v_rcp_f32_e32 v7, v5
	v_div_scale_f32 v8, vcc, 1.0, v1, 1.0
	v_fma_f32 v9, -v5, v7, 1.0
	v_fmac_f32_e32 v7, v9, v7
	v_mul_f32_e32 v9, v8, v7
	v_fma_f32 v10, -v5, v9, v8
	v_fmac_f32_e32 v9, v10, v7
	v_fma_f32 v5, -v5, v9, v8
	v_div_fmas_f32 v5, v5, v7, v9
	v_div_fixup_f32 v5, v5, v1, 1.0
	v_cmp_eq_u32_e32 vcc, 0, v6
	s_and_saveexec_b64 s[4:5], vcc
	s_cbranch_execz .LBB13_17
; %bb.16:
	v_mov_b32_e32 v1, s11
	v_add_co_u32_e32 v8, vcc, s10, v2
	v_addc_co_u32_e32 v9, vcc, v1, v3, vcc
	s_waitcnt lgkmcnt(0)
	v_mul_f32_e32 v1, v4, v5
	global_store_dword v[8:9], v1, off
.LBB13_17:
	s_or_b64 exec, exec, s[4:5]
	s_and_saveexec_b64 s[4:5], s[0:1]
	s_cbranch_execz .LBB13_20
; %bb.18:
	v_mov_b32_e32 v1, s17
	v_add_co_u32_e32 v2, vcc, s16, v2
	v_addc_co_u32_e32 v3, vcc, v1, v3, vcc
	global_load_dword v2, v[2:3], off
	v_mul_f32_e32 v1, v5, v5
	v_mul_f32_e32 v3, v5, v1
	s_mov_b64 s[4:5], 0
	v_mov_b32_e32 v7, s13
	v_mov_b32_e32 v8, s15
	;; [unrolled: 1-line block ×3, first 2 shown]
.LBB13_19:                              ; =>This Inner Loop Header: Depth=1
	v_ashrrev_i32_e32 v1, 31, v0
	v_lshlrev_b64 v[10:11], 2, v[0:1]
	v_add_co_u32_e32 v12, vcc, s14, v10
	v_addc_co_u32_e32 v13, vcc, v8, v11, vcc
	global_load_dword v1, v[12:13], off
	v_add_co_u32_e32 v12, vcc, s12, v10
	v_addc_co_u32_e32 v13, vcc, v7, v11, vcc
	global_load_dword v12, v[12:13], off
	v_add_u32_e32 v6, s20, v6
	v_cmp_le_i32_e32 vcc, s3, v6
	v_add_co_u32_e64 v10, s[0:1], s8, v10
	v_addc_co_u32_e64 v11, s[0:1], v9, v11, s[0:1]
	s_or_b64 s[4:5], vcc, s[4:5]
	v_add_u32_e32 v0, s2, v0
	s_waitcnt vmcnt(1)
	v_mul_f32_e32 v1, v3, v1
	s_waitcnt lgkmcnt(0)
	v_mul_f32_e32 v1, v4, v1
	s_waitcnt vmcnt(0)
	v_fma_f32 v1, v5, v12, -v1
	v_mul_f32_e32 v1, v2, v1
	global_store_dword v[10:11], v1, off
	s_andn2_b64 exec, exec, s[4:5]
	s_cbranch_execnz .LBB13_19
.LBB13_20:
	s_endpgm
.LBB13_21:                              ;   in Loop: Header=BB13_22 Depth=1
	s_or_b64 exec, exec, s[4:5]
	s_lshr_b32 s4, s22, 1
	s_cmpk_lt_u32 s22, 0x80
	s_mov_b32 s22, s4
	s_waitcnt lgkmcnt(0)
	s_barrier
	s_cbranch_scc1 .LBB13_7
.LBB13_22:                              ; =>This Inner Loop Header: Depth=1
	v_cmp_gt_i32_e32 vcc, s22, v4
	s_and_saveexec_b64 s[4:5], vcc
	s_cbranch_execz .LBB13_21
; %bb.23:                               ;   in Loop: Header=BB13_22 Depth=1
	v_lshl_add_u32 v5, s22, 2, v3
	ds_read_b32 v8, v3
	ds_read_b32 v5, v5
	s_waitcnt lgkmcnt(0)
	v_add_f32_e32 v5, v8, v5
	ds_write_b32 v3, v5
	s_branch .LBB13_21
	.section	.rodata,"a",@progbits
	.p2align	6, 0x0
	.amdhsa_kernel _ZN2at6native12_GLOBAL__N_131weight_norm_bwd_last_dim_kernelIffEEvPT_S4_PKS3_S6_S6_PKT0_ii
		.amdhsa_group_segment_fixed_size 0
		.amdhsa_private_segment_fixed_size 0
		.amdhsa_kernarg_size 312
		.amdhsa_user_sgpr_count 6
		.amdhsa_user_sgpr_private_segment_buffer 1
		.amdhsa_user_sgpr_dispatch_ptr 0
		.amdhsa_user_sgpr_queue_ptr 0
		.amdhsa_user_sgpr_kernarg_segment_ptr 1
		.amdhsa_user_sgpr_dispatch_id 0
		.amdhsa_user_sgpr_flat_scratch_init 0
		.amdhsa_user_sgpr_kernarg_preload_length 0
		.amdhsa_user_sgpr_kernarg_preload_offset 0
		.amdhsa_user_sgpr_private_segment_size 0
		.amdhsa_uses_dynamic_stack 0
		.amdhsa_system_sgpr_private_segment_wavefront_offset 0
		.amdhsa_system_sgpr_workgroup_id_x 1
		.amdhsa_system_sgpr_workgroup_id_y 0
		.amdhsa_system_sgpr_workgroup_id_z 0
		.amdhsa_system_sgpr_workgroup_info 0
		.amdhsa_system_vgpr_workitem_id 1
		.amdhsa_next_free_vgpr 14
		.amdhsa_next_free_sgpr 23
		.amdhsa_accum_offset 16
		.amdhsa_reserve_vcc 1
		.amdhsa_reserve_flat_scratch 0
		.amdhsa_float_round_mode_32 0
		.amdhsa_float_round_mode_16_64 0
		.amdhsa_float_denorm_mode_32 3
		.amdhsa_float_denorm_mode_16_64 3
		.amdhsa_dx10_clamp 1
		.amdhsa_ieee_mode 1
		.amdhsa_fp16_overflow 0
		.amdhsa_tg_split 0
		.amdhsa_exception_fp_ieee_invalid_op 0
		.amdhsa_exception_fp_denorm_src 0
		.amdhsa_exception_fp_ieee_div_zero 0
		.amdhsa_exception_fp_ieee_overflow 0
		.amdhsa_exception_fp_ieee_underflow 0
		.amdhsa_exception_fp_ieee_inexact 0
		.amdhsa_exception_int_div_zero 0
	.end_amdhsa_kernel
	.section	.text._ZN2at6native12_GLOBAL__N_131weight_norm_bwd_last_dim_kernelIffEEvPT_S4_PKS3_S6_S6_PKT0_ii,"axG",@progbits,_ZN2at6native12_GLOBAL__N_131weight_norm_bwd_last_dim_kernelIffEEvPT_S4_PKS3_S6_S6_PKT0_ii,comdat
.Lfunc_end13:
	.size	_ZN2at6native12_GLOBAL__N_131weight_norm_bwd_last_dim_kernelIffEEvPT_S4_PKS3_S6_S6_PKT0_ii, .Lfunc_end13-_ZN2at6native12_GLOBAL__N_131weight_norm_bwd_last_dim_kernelIffEEvPT_S4_PKS3_S6_S6_PKT0_ii
                                        ; -- End function
	.section	.AMDGPU.csdata,"",@progbits
; Kernel info:
; codeLenInByte = 868
; NumSgprs: 27
; NumVgprs: 14
; NumAgprs: 0
; TotalNumVgprs: 14
; ScratchSize: 0
; MemoryBound: 0
; FloatMode: 240
; IeeeMode: 1
; LDSByteSize: 0 bytes/workgroup (compile time only)
; SGPRBlocks: 3
; VGPRBlocks: 1
; NumSGPRsForWavesPerEU: 27
; NumVGPRsForWavesPerEU: 14
; AccumOffset: 16
; Occupancy: 8
; WaveLimiterHint : 0
; COMPUTE_PGM_RSRC2:SCRATCH_EN: 0
; COMPUTE_PGM_RSRC2:USER_SGPR: 6
; COMPUTE_PGM_RSRC2:TRAP_HANDLER: 0
; COMPUTE_PGM_RSRC2:TGID_X_EN: 1
; COMPUTE_PGM_RSRC2:TGID_Y_EN: 0
; COMPUTE_PGM_RSRC2:TGID_Z_EN: 0
; COMPUTE_PGM_RSRC2:TIDIG_COMP_CNT: 1
; COMPUTE_PGM_RSRC3_GFX90A:ACCUM_OFFSET: 3
; COMPUTE_PGM_RSRC3_GFX90A:TG_SPLIT: 0
	.section	.text._ZN2at6native12_GLOBAL__N_131weight_norm_bwd_last_dim_kernelIN3c108BFloat16EfEEvPT_S6_PKS5_S8_S8_PKT0_ii,"axG",@progbits,_ZN2at6native12_GLOBAL__N_131weight_norm_bwd_last_dim_kernelIN3c108BFloat16EfEEvPT_S6_PKS5_S8_S8_PKT0_ii,comdat
	.globl	_ZN2at6native12_GLOBAL__N_131weight_norm_bwd_last_dim_kernelIN3c108BFloat16EfEEvPT_S6_PKS5_S8_S8_PKT0_ii ; -- Begin function _ZN2at6native12_GLOBAL__N_131weight_norm_bwd_last_dim_kernelIN3c108BFloat16EfEEvPT_S6_PKS5_S8_S8_PKT0_ii
	.p2align	8
	.type	_ZN2at6native12_GLOBAL__N_131weight_norm_bwd_last_dim_kernelIN3c108BFloat16EfEEvPT_S6_PKS5_S8_S8_PKT0_ii,@function
_ZN2at6native12_GLOBAL__N_131weight_norm_bwd_last_dim_kernelIN3c108BFloat16EfEEvPT_S6_PKS5_S8_S8_PKT0_ii: ; @_ZN2at6native12_GLOBAL__N_131weight_norm_bwd_last_dim_kernelIN3c108BFloat16EfEEvPT_S6_PKS5_S8_S8_PKT0_ii
; %bb.0:
	s_load_dword s0, s[4:5], 0x44
	s_load_dwordx8 s[8:15], s[4:5], 0x0
	s_load_dwordx4 s[16:19], s[4:5], 0x20
	s_load_dwordx2 s[2:3], s[4:5], 0x30
	v_and_b32_e32 v7, 0x3ff, v0
	s_waitcnt lgkmcnt(0)
	s_and_b32 s21, s0, 0xffff
	s_mul_i32 s6, s6, s21
	v_add_u32_e32 v2, s6, v7
	v_bfe_u32 v6, v0, 10, 10
	s_lshr_b32 s20, s0, 16
	v_mad_u64_u32 v[0:1], s[0:1], v6, s2, v[2:3]
	v_cmp_gt_i32_e32 vcc, s2, v2
	v_cmp_gt_i32_e64 s[0:1], s3, v6
	s_and_b64 s[4:5], vcc, s[0:1]
	v_mov_b32_e32 v1, 0
	s_mul_i32 s2, s20, s2
	s_and_saveexec_b64 s[0:1], s[4:5]
	s_cbranch_execz .LBB14_4
; %bb.1:
	s_mov_b64 s[6:7], 0
	v_mov_b32_e32 v1, 0
	v_mov_b32_e32 v3, s13
	;; [unrolled: 1-line block ×5, first 2 shown]
.LBB14_2:                               ; =>This Inner Loop Header: Depth=1
	v_ashrrev_i32_e32 v5, 31, v4
	v_lshlrev_b64 v[10:11], 1, v[4:5]
	v_add_co_u32_e32 v12, vcc, s12, v10
	v_addc_co_u32_e32 v13, vcc, v3, v11, vcc
	v_add_co_u32_e32 v10, vcc, s14, v10
	v_addc_co_u32_e32 v11, vcc, v8, v11, vcc
	global_load_ushort v5, v[12:13], off
	global_load_ushort v14, v[10:11], off
	v_add_u32_e32 v9, s20, v9
	v_cmp_le_i32_e32 vcc, s3, v9
	s_or_b64 s[6:7], vcc, s[6:7]
	v_add_u32_e32 v4, s2, v4
	s_waitcnt vmcnt(1)
	v_lshlrev_b32_e32 v5, 16, v5
	s_waitcnt vmcnt(0)
	v_lshlrev_b32_e32 v10, 16, v14
	v_fmac_f32_e32 v1, v10, v5
	s_andn2_b64 exec, exec, s[6:7]
	s_cbranch_execnz .LBB14_2
; %bb.3:
	s_or_b64 exec, exec, s[6:7]
.LBB14_4:
	s_or_b64 exec, exec, s[0:1]
	s_mul_i32 s0, s20, s21
	v_mad_u32_u24 v4, v6, s21, v7
	s_cmp_gt_i32 s0, 63
	s_cselect_b64 s[6:7], -1, 0
	s_cmp_lt_i32 s0, 64
	v_lshl_add_u32 v3, v4, 2, 0
	s_cbranch_scc1 .LBB14_6
; %bb.5:
	ds_write_b32 v3, v1
	s_waitcnt lgkmcnt(0)
	s_barrier
.LBB14_6:
	s_ashr_i32 s22, s0, 1
	s_cmp_lt_i32 s22, 64
	s_cbranch_scc0 .LBB14_22
.LBB14_7:
	v_cmp_gt_u32_e32 vcc, 32, v4
	s_and_saveexec_b64 s[0:1], vcc
	s_cbranch_execz .LBB14_15
; %bb.8:
	s_andn2_b64 vcc, exec, s[6:7]
	s_cbranch_vccnz .LBB14_10
; %bb.9:
	ds_read2_b32 v[8:9], v3 offset1:32
	s_waitcnt lgkmcnt(0)
	v_add_f32_e32 v1, v8, v9
.LBB14_10:
	s_cmp_gt_u32 s21, 16
	s_mov_b32 s6, 16
	s_cbranch_scc1 .LBB14_13
; %bb.11:
	v_mbcnt_lo_u32_b32 v5, -1, 0
	v_mbcnt_hi_u32_b32 v5, -1, v5
	v_and_b32_e32 v8, 63, v5
.LBB14_12:                              ; =>This Inner Loop Header: Depth=1
	v_add_u32_e32 v9, s6, v8
	v_mov_b32_e32 v10, s6
	v_cmp_gt_u32_e32 vcc, 64, v9
	v_cndmask_b32_e32 v9, 0, v10, vcc
	v_add_lshl_u32 v9, v9, v5, 2
	ds_bpermute_b32 v9, v9, v1
	s_lshr_b32 s6, s6, 1
	s_cmp_lt_u32 s6, s21
	s_waitcnt lgkmcnt(0)
	v_add_f32_e32 v1, v1, v9
	s_cbranch_scc0 .LBB14_12
.LBB14_13:
	v_cmp_gt_u32_e32 vcc, s21, v4
	s_and_b64 exec, exec, vcc
	s_cbranch_execz .LBB14_15
; %bb.14:
	ds_write_b32 v3, v1
.LBB14_15:
	s_or_b64 exec, exec, s[0:1]
	v_ashrrev_i32_e32 v3, 31, v2
	v_lshlrev_b64 v[4:5], 2, v[2:3]
	v_mov_b32_e32 v1, s19
	v_add_co_u32_e32 v4, vcc, s18, v4
	v_addc_co_u32_e32 v5, vcc, v1, v5, vcc
	s_waitcnt lgkmcnt(0)
	s_barrier
	global_load_dword v1, v[4:5], off
	v_lshl_add_u32 v4, v7, 2, 0
	ds_read_b32 v7, v4
	v_cmp_eq_u32_e64 s[0:1], 0, v6
	v_lshlrev_b64 v[2:3], 1, v[2:3]
	s_waitcnt vmcnt(0)
	v_div_scale_f32 v5, s[6:7], v1, v1, 1.0
	v_rcp_f32_e32 v8, v5
	v_div_scale_f32 v4, vcc, 1.0, v1, 1.0
	v_fma_f32 v9, -v5, v8, 1.0
	v_fmac_f32_e32 v8, v9, v8
	v_mul_f32_e32 v9, v4, v8
	v_fma_f32 v10, -v5, v9, v4
	v_fmac_f32_e32 v9, v10, v8
	v_fma_f32 v4, -v5, v9, v4
	v_div_fmas_f32 v4, v4, v8, v9
	v_div_fixup_f32 v4, v4, v1, 1.0
	s_and_saveexec_b64 s[6:7], s[0:1]
	s_cbranch_execz .LBB14_17
; %bb.16:
	s_waitcnt lgkmcnt(0)
	v_mul_f32_e32 v1, v7, v4
	v_bfe_u32 v5, v1, 16, 1
	s_movk_i32 s0, 0x7fff
	v_add3_u32 v5, v1, v5, s0
	v_lshrrev_b32_e32 v5, 16, v5
	v_mov_b32_e32 v8, 0x7fc0
	v_cmp_o_f32_e32 vcc, v1, v1
	v_cndmask_b32_e32 v1, v8, v5, vcc
	v_mov_b32_e32 v5, s11
	v_add_co_u32_e32 v8, vcc, s10, v2
	v_addc_co_u32_e32 v9, vcc, v5, v3, vcc
	global_store_short v[8:9], v1, off
.LBB14_17:
	s_or_b64 exec, exec, s[6:7]
	s_and_saveexec_b64 s[0:1], s[4:5]
	s_cbranch_execz .LBB14_20
; %bb.18:
	v_mov_b32_e32 v1, s17
	v_add_co_u32_e32 v2, vcc, s16, v2
	v_addc_co_u32_e32 v3, vcc, v1, v3, vcc
	global_load_ushort v1, v[2:3], off
	v_mul_f32_e32 v5, v4, v4
	s_mov_b64 s[4:5], 0
	v_mov_b32_e32 v2, s13
	v_mov_b32_e32 v3, s15
	s_movk_i32 s6, 0x7fff
	v_mov_b32_e32 v8, 0x7fc0
	v_mul_f32_e32 v5, v4, v5
	v_mov_b32_e32 v10, s9
	s_waitcnt vmcnt(0)
	v_lshlrev_b32_e32 v9, 16, v1
.LBB14_19:                              ; =>This Inner Loop Header: Depth=1
	v_ashrrev_i32_e32 v1, 31, v0
	v_lshlrev_b64 v[12:13], 1, v[0:1]
	v_add_co_u32_e32 v14, vcc, s12, v12
	v_addc_co_u32_e32 v15, vcc, v2, v13, vcc
	v_add_co_u32_e32 v16, vcc, s14, v12
	v_addc_co_u32_e32 v17, vcc, v3, v13, vcc
	global_load_ushort v1, v[16:17], off
	global_load_ushort v11, v[14:15], off
	v_add_u32_e32 v6, s20, v6
	v_cmp_le_i32_e32 vcc, s3, v6
	v_add_co_u32_e64 v12, s[0:1], s8, v12
	s_or_b64 s[4:5], vcc, s[4:5]
	v_addc_co_u32_e64 v13, s[0:1], v10, v13, s[0:1]
	v_add_u32_e32 v0, s2, v0
	s_waitcnt vmcnt(1)
	v_lshlrev_b32_e32 v15, 16, v1
	s_waitcnt vmcnt(0)
	v_lshlrev_b32_e32 v14, 16, v11
	v_pk_mul_f32 v[14:15], v[4:5], v[14:15]
	s_waitcnt lgkmcnt(0)
	v_fma_f32 v1, -v7, v15, v14
	v_mul_f32_e32 v1, v1, v9
	v_bfe_u32 v11, v1, 16, 1
	v_add3_u32 v11, v1, v11, s6
	v_lshrrev_b32_e32 v11, 16, v11
	v_cmp_o_f32_e32 vcc, v1, v1
	v_cndmask_b32_e32 v1, v8, v11, vcc
	global_store_short v[12:13], v1, off
	s_andn2_b64 exec, exec, s[4:5]
	s_cbranch_execnz .LBB14_19
.LBB14_20:
	s_endpgm
.LBB14_21:                              ;   in Loop: Header=BB14_22 Depth=1
	s_or_b64 exec, exec, s[0:1]
	s_lshr_b32 s0, s22, 1
	s_cmpk_lt_u32 s22, 0x80
	s_mov_b32 s22, s0
	s_waitcnt lgkmcnt(0)
	s_barrier
	s_cbranch_scc1 .LBB14_7
.LBB14_22:                              ; =>This Inner Loop Header: Depth=1
	v_cmp_gt_i32_e32 vcc, s22, v4
	s_and_saveexec_b64 s[0:1], vcc
	s_cbranch_execz .LBB14_21
; %bb.23:                               ;   in Loop: Header=BB14_22 Depth=1
	v_lshl_add_u32 v5, s22, 2, v3
	ds_read_b32 v8, v3
	ds_read_b32 v5, v5
	s_waitcnt lgkmcnt(0)
	v_add_f32_e32 v5, v8, v5
	ds_write_b32 v3, v5
	s_branch .LBB14_21
	.section	.rodata,"a",@progbits
	.p2align	6, 0x0
	.amdhsa_kernel _ZN2at6native12_GLOBAL__N_131weight_norm_bwd_last_dim_kernelIN3c108BFloat16EfEEvPT_S6_PKS5_S8_S8_PKT0_ii
		.amdhsa_group_segment_fixed_size 0
		.amdhsa_private_segment_fixed_size 0
		.amdhsa_kernarg_size 312
		.amdhsa_user_sgpr_count 6
		.amdhsa_user_sgpr_private_segment_buffer 1
		.amdhsa_user_sgpr_dispatch_ptr 0
		.amdhsa_user_sgpr_queue_ptr 0
		.amdhsa_user_sgpr_kernarg_segment_ptr 1
		.amdhsa_user_sgpr_dispatch_id 0
		.amdhsa_user_sgpr_flat_scratch_init 0
		.amdhsa_user_sgpr_kernarg_preload_length 0
		.amdhsa_user_sgpr_kernarg_preload_offset 0
		.amdhsa_user_sgpr_private_segment_size 0
		.amdhsa_uses_dynamic_stack 0
		.amdhsa_system_sgpr_private_segment_wavefront_offset 0
		.amdhsa_system_sgpr_workgroup_id_x 1
		.amdhsa_system_sgpr_workgroup_id_y 0
		.amdhsa_system_sgpr_workgroup_id_z 0
		.amdhsa_system_sgpr_workgroup_info 0
		.amdhsa_system_vgpr_workitem_id 1
		.amdhsa_next_free_vgpr 18
		.amdhsa_next_free_sgpr 23
		.amdhsa_accum_offset 20
		.amdhsa_reserve_vcc 1
		.amdhsa_reserve_flat_scratch 0
		.amdhsa_float_round_mode_32 0
		.amdhsa_float_round_mode_16_64 0
		.amdhsa_float_denorm_mode_32 3
		.amdhsa_float_denorm_mode_16_64 3
		.amdhsa_dx10_clamp 1
		.amdhsa_ieee_mode 1
		.amdhsa_fp16_overflow 0
		.amdhsa_tg_split 0
		.amdhsa_exception_fp_ieee_invalid_op 0
		.amdhsa_exception_fp_denorm_src 0
		.amdhsa_exception_fp_ieee_div_zero 0
		.amdhsa_exception_fp_ieee_overflow 0
		.amdhsa_exception_fp_ieee_underflow 0
		.amdhsa_exception_fp_ieee_inexact 0
		.amdhsa_exception_int_div_zero 0
	.end_amdhsa_kernel
	.section	.text._ZN2at6native12_GLOBAL__N_131weight_norm_bwd_last_dim_kernelIN3c108BFloat16EfEEvPT_S6_PKS5_S8_S8_PKT0_ii,"axG",@progbits,_ZN2at6native12_GLOBAL__N_131weight_norm_bwd_last_dim_kernelIN3c108BFloat16EfEEvPT_S6_PKS5_S8_S8_PKT0_ii,comdat
.Lfunc_end14:
	.size	_ZN2at6native12_GLOBAL__N_131weight_norm_bwd_last_dim_kernelIN3c108BFloat16EfEEvPT_S6_PKS5_S8_S8_PKT0_ii, .Lfunc_end14-_ZN2at6native12_GLOBAL__N_131weight_norm_bwd_last_dim_kernelIN3c108BFloat16EfEEvPT_S6_PKS5_S8_S8_PKT0_ii
                                        ; -- End function
	.section	.AMDGPU.csdata,"",@progbits
; Kernel info:
; codeLenInByte = 988
; NumSgprs: 27
; NumVgprs: 18
; NumAgprs: 0
; TotalNumVgprs: 18
; ScratchSize: 0
; MemoryBound: 0
; FloatMode: 240
; IeeeMode: 1
; LDSByteSize: 0 bytes/workgroup (compile time only)
; SGPRBlocks: 3
; VGPRBlocks: 2
; NumSGPRsForWavesPerEU: 27
; NumVGPRsForWavesPerEU: 18
; AccumOffset: 20
; Occupancy: 8
; WaveLimiterHint : 0
; COMPUTE_PGM_RSRC2:SCRATCH_EN: 0
; COMPUTE_PGM_RSRC2:USER_SGPR: 6
; COMPUTE_PGM_RSRC2:TRAP_HANDLER: 0
; COMPUTE_PGM_RSRC2:TGID_X_EN: 1
; COMPUTE_PGM_RSRC2:TGID_Y_EN: 0
; COMPUTE_PGM_RSRC2:TGID_Z_EN: 0
; COMPUTE_PGM_RSRC2:TIDIG_COMP_CNT: 1
; COMPUTE_PGM_RSRC3_GFX90A:ACCUM_OFFSET: 4
; COMPUTE_PGM_RSRC3_GFX90A:TG_SPLIT: 0
	.section	.text._ZN2at6native12_GLOBAL__N_131weight_norm_bwd_last_dim_kernelIN3c104HalfEfEEvPT_S6_PKS5_S8_S8_PKT0_ii,"axG",@progbits,_ZN2at6native12_GLOBAL__N_131weight_norm_bwd_last_dim_kernelIN3c104HalfEfEEvPT_S6_PKS5_S8_S8_PKT0_ii,comdat
	.globl	_ZN2at6native12_GLOBAL__N_131weight_norm_bwd_last_dim_kernelIN3c104HalfEfEEvPT_S6_PKS5_S8_S8_PKT0_ii ; -- Begin function _ZN2at6native12_GLOBAL__N_131weight_norm_bwd_last_dim_kernelIN3c104HalfEfEEvPT_S6_PKS5_S8_S8_PKT0_ii
	.p2align	8
	.type	_ZN2at6native12_GLOBAL__N_131weight_norm_bwd_last_dim_kernelIN3c104HalfEfEEvPT_S6_PKS5_S8_S8_PKT0_ii,@function
_ZN2at6native12_GLOBAL__N_131weight_norm_bwd_last_dim_kernelIN3c104HalfEfEEvPT_S6_PKS5_S8_S8_PKT0_ii: ; @_ZN2at6native12_GLOBAL__N_131weight_norm_bwd_last_dim_kernelIN3c104HalfEfEEvPT_S6_PKS5_S8_S8_PKT0_ii
; %bb.0:
	s_load_dword s0, s[4:5], 0x44
	s_load_dwordx8 s[8:15], s[4:5], 0x0
	s_load_dwordx4 s[16:19], s[4:5], 0x20
	s_load_dwordx2 s[2:3], s[4:5], 0x30
	v_and_b32_e32 v7, 0x3ff, v0
	s_waitcnt lgkmcnt(0)
	s_and_b32 s21, s0, 0xffff
	s_mul_i32 s6, s6, s21
	v_add_u32_e32 v2, s6, v7
	v_bfe_u32 v6, v0, 10, 10
	s_lshr_b32 s20, s0, 16
	v_mad_u64_u32 v[0:1], s[0:1], v6, s2, v[2:3]
	v_cmp_gt_i32_e32 vcc, s2, v2
	v_cmp_gt_i32_e64 s[0:1], s3, v6
	s_and_b64 s[4:5], vcc, s[0:1]
	v_mov_b32_e32 v1, 0
	s_mul_i32 s2, s20, s2
	s_and_saveexec_b64 s[0:1], s[4:5]
	s_cbranch_execz .LBB15_4
; %bb.1:
	s_mov_b64 s[6:7], 0
	v_mov_b32_e32 v1, 0
	v_mov_b32_e32 v3, s13
	;; [unrolled: 1-line block ×5, first 2 shown]
.LBB15_2:                               ; =>This Inner Loop Header: Depth=1
	v_ashrrev_i32_e32 v5, 31, v4
	v_lshlrev_b64 v[10:11], 1, v[4:5]
	v_add_co_u32_e32 v12, vcc, s12, v10
	v_addc_co_u32_e32 v13, vcc, v3, v11, vcc
	v_add_co_u32_e32 v10, vcc, s14, v10
	v_addc_co_u32_e32 v11, vcc, v8, v11, vcc
	global_load_ushort v5, v[12:13], off
	v_add_u32_e32 v9, s20, v9
	global_load_ushort v10, v[10:11], off
	v_cmp_le_i32_e32 vcc, s3, v9
	s_or_b64 s[6:7], vcc, s[6:7]
	v_add_u32_e32 v4, s2, v4
	s_waitcnt vmcnt(0)
	v_fma_mix_f32 v1, v5, v10, v1 op_sel_hi:[1,1,0]
	s_andn2_b64 exec, exec, s[6:7]
	s_cbranch_execnz .LBB15_2
; %bb.3:
	s_or_b64 exec, exec, s[6:7]
.LBB15_4:
	s_or_b64 exec, exec, s[0:1]
	s_mul_i32 s0, s20, s21
	v_mad_u32_u24 v4, v6, s21, v7
	s_cmp_gt_i32 s0, 63
	s_cselect_b64 s[6:7], -1, 0
	s_cmp_lt_i32 s0, 64
	v_lshl_add_u32 v3, v4, 2, 0
	s_cbranch_scc1 .LBB15_6
; %bb.5:
	ds_write_b32 v3, v1
	s_waitcnt lgkmcnt(0)
	s_barrier
.LBB15_6:
	s_ashr_i32 s22, s0, 1
	s_cmp_lt_i32 s22, 64
	s_cbranch_scc0 .LBB15_22
.LBB15_7:
	v_cmp_gt_u32_e32 vcc, 32, v4
	s_and_saveexec_b64 s[0:1], vcc
	s_cbranch_execz .LBB15_15
; %bb.8:
	s_andn2_b64 vcc, exec, s[6:7]
	s_cbranch_vccnz .LBB15_10
; %bb.9:
	ds_read2_b32 v[8:9], v3 offset1:32
	s_waitcnt lgkmcnt(0)
	v_add_f32_e32 v1, v8, v9
.LBB15_10:
	s_cmp_gt_u32 s21, 16
	s_mov_b32 s6, 16
	s_cbranch_scc1 .LBB15_13
; %bb.11:
	v_mbcnt_lo_u32_b32 v5, -1, 0
	v_mbcnt_hi_u32_b32 v5, -1, v5
	v_and_b32_e32 v8, 63, v5
.LBB15_12:                              ; =>This Inner Loop Header: Depth=1
	v_add_u32_e32 v9, s6, v8
	v_mov_b32_e32 v10, s6
	v_cmp_gt_u32_e32 vcc, 64, v9
	v_cndmask_b32_e32 v9, 0, v10, vcc
	v_add_lshl_u32 v9, v9, v5, 2
	ds_bpermute_b32 v9, v9, v1
	s_lshr_b32 s6, s6, 1
	s_cmp_lt_u32 s6, s21
	s_waitcnt lgkmcnt(0)
	v_add_f32_e32 v1, v1, v9
	s_cbranch_scc0 .LBB15_12
.LBB15_13:
	v_cmp_gt_u32_e32 vcc, s21, v4
	s_and_b64 exec, exec, vcc
	s_cbranch_execz .LBB15_15
; %bb.14:
	ds_write_b32 v3, v1
.LBB15_15:
	s_or_b64 exec, exec, s[0:1]
	v_ashrrev_i32_e32 v3, 31, v2
	v_lshlrev_b64 v[4:5], 2, v[2:3]
	v_mov_b32_e32 v1, s19
	v_add_co_u32_e32 v4, vcc, s18, v4
	v_addc_co_u32_e32 v5, vcc, v1, v5, vcc
	s_waitcnt lgkmcnt(0)
	s_barrier
	global_load_dword v1, v[4:5], off
	v_lshl_add_u32 v4, v7, 2, 0
	ds_read_b32 v4, v4
	v_cmp_eq_u32_e64 s[0:1], 0, v6
	v_lshlrev_b64 v[2:3], 1, v[2:3]
	s_waitcnt vmcnt(0)
	v_div_scale_f32 v5, s[6:7], v1, v1, 1.0
	v_rcp_f32_e32 v7, v5
	v_div_scale_f32 v8, vcc, 1.0, v1, 1.0
	v_fma_f32 v9, -v5, v7, 1.0
	v_fmac_f32_e32 v7, v9, v7
	v_mul_f32_e32 v9, v8, v7
	v_fma_f32 v10, -v5, v9, v8
	v_fmac_f32_e32 v9, v10, v7
	v_fma_f32 v5, -v5, v9, v8
	v_div_fmas_f32 v5, v5, v7, v9
	v_div_fixup_f32 v5, v5, v1, 1.0
	s_and_saveexec_b64 s[6:7], s[0:1]
	s_cbranch_execz .LBB15_17
; %bb.16:
	v_mov_b32_e32 v1, s11
	v_add_co_u32_e32 v8, vcc, s10, v2
	v_addc_co_u32_e32 v9, vcc, v1, v3, vcc
	s_waitcnt lgkmcnt(0)
	v_fma_mixlo_f16 v1, v4, v5, 0
	global_store_short v[8:9], v1, off
.LBB15_17:
	s_or_b64 exec, exec, s[6:7]
	s_and_saveexec_b64 s[0:1], s[4:5]
	s_cbranch_execz .LBB15_20
; %bb.18:
	v_mov_b32_e32 v1, s17
	v_add_co_u32_e32 v2, vcc, s16, v2
	v_addc_co_u32_e32 v3, vcc, v1, v3, vcc
	global_load_ushort v1, v[2:3], off
	v_mul_f32_e32 v2, v5, v5
	v_mul_f32_e32 v2, v5, v2
	s_mov_b64 s[4:5], 0
	v_mov_b32_e32 v7, s13
	v_mov_b32_e32 v8, s15
	;; [unrolled: 1-line block ×3, first 2 shown]
	s_waitcnt vmcnt(0)
	v_cvt_f32_f16_e32 v3, v1
.LBB15_19:                              ; =>This Inner Loop Header: Depth=1
	v_ashrrev_i32_e32 v1, 31, v0
	v_lshlrev_b64 v[10:11], 1, v[0:1]
	v_add_co_u32_e32 v12, vcc, s14, v10
	v_addc_co_u32_e32 v13, vcc, v8, v11, vcc
	global_load_ushort v1, v[12:13], off
	v_add_co_u32_e32 v12, vcc, s12, v10
	v_addc_co_u32_e32 v13, vcc, v7, v11, vcc
	global_load_ushort v12, v[12:13], off
	v_add_u32_e32 v6, s20, v6
	v_cmp_le_i32_e32 vcc, s3, v6
	v_add_co_u32_e64 v10, s[0:1], s8, v10
	v_addc_co_u32_e64 v11, s[0:1], v9, v11, s[0:1]
	s_or_b64 s[4:5], vcc, s[4:5]
	v_add_u32_e32 v0, s2, v0
	s_waitcnt vmcnt(1)
	v_cvt_f32_f16_e32 v1, v1
	v_mul_f32_e32 v1, v2, v1
	s_waitcnt lgkmcnt(0)
	v_mul_f32_e32 v1, v4, v1
	s_waitcnt vmcnt(0)
	v_fma_mix_f32 v1, v5, v12, -v1 op_sel_hi:[0,1,0]
	v_fma_mixlo_f16 v1, v1, v3, 0
	global_store_short v[10:11], v1, off
	s_andn2_b64 exec, exec, s[4:5]
	s_cbranch_execnz .LBB15_19
.LBB15_20:
	s_endpgm
.LBB15_21:                              ;   in Loop: Header=BB15_22 Depth=1
	s_or_b64 exec, exec, s[0:1]
	s_lshr_b32 s0, s22, 1
	s_cmpk_lt_u32 s22, 0x80
	s_mov_b32 s22, s0
	s_waitcnt lgkmcnt(0)
	s_barrier
	s_cbranch_scc1 .LBB15_7
.LBB15_22:                              ; =>This Inner Loop Header: Depth=1
	v_cmp_gt_i32_e32 vcc, s22, v4
	s_and_saveexec_b64 s[0:1], vcc
	s_cbranch_execz .LBB15_21
; %bb.23:                               ;   in Loop: Header=BB15_22 Depth=1
	v_lshl_add_u32 v5, s22, 2, v3
	ds_read_b32 v8, v3
	ds_read_b32 v5, v5
	s_waitcnt lgkmcnt(0)
	v_add_f32_e32 v5, v8, v5
	ds_write_b32 v3, v5
	s_branch .LBB15_21
	.section	.rodata,"a",@progbits
	.p2align	6, 0x0
	.amdhsa_kernel _ZN2at6native12_GLOBAL__N_131weight_norm_bwd_last_dim_kernelIN3c104HalfEfEEvPT_S6_PKS5_S8_S8_PKT0_ii
		.amdhsa_group_segment_fixed_size 0
		.amdhsa_private_segment_fixed_size 0
		.amdhsa_kernarg_size 312
		.amdhsa_user_sgpr_count 6
		.amdhsa_user_sgpr_private_segment_buffer 1
		.amdhsa_user_sgpr_dispatch_ptr 0
		.amdhsa_user_sgpr_queue_ptr 0
		.amdhsa_user_sgpr_kernarg_segment_ptr 1
		.amdhsa_user_sgpr_dispatch_id 0
		.amdhsa_user_sgpr_flat_scratch_init 0
		.amdhsa_user_sgpr_kernarg_preload_length 0
		.amdhsa_user_sgpr_kernarg_preload_offset 0
		.amdhsa_user_sgpr_private_segment_size 0
		.amdhsa_uses_dynamic_stack 0
		.amdhsa_system_sgpr_private_segment_wavefront_offset 0
		.amdhsa_system_sgpr_workgroup_id_x 1
		.amdhsa_system_sgpr_workgroup_id_y 0
		.amdhsa_system_sgpr_workgroup_id_z 0
		.amdhsa_system_sgpr_workgroup_info 0
		.amdhsa_system_vgpr_workitem_id 1
		.amdhsa_next_free_vgpr 14
		.amdhsa_next_free_sgpr 23
		.amdhsa_accum_offset 16
		.amdhsa_reserve_vcc 1
		.amdhsa_reserve_flat_scratch 0
		.amdhsa_float_round_mode_32 0
		.amdhsa_float_round_mode_16_64 0
		.amdhsa_float_denorm_mode_32 3
		.amdhsa_float_denorm_mode_16_64 3
		.amdhsa_dx10_clamp 1
		.amdhsa_ieee_mode 1
		.amdhsa_fp16_overflow 0
		.amdhsa_tg_split 0
		.amdhsa_exception_fp_ieee_invalid_op 0
		.amdhsa_exception_fp_denorm_src 0
		.amdhsa_exception_fp_ieee_div_zero 0
		.amdhsa_exception_fp_ieee_overflow 0
		.amdhsa_exception_fp_ieee_underflow 0
		.amdhsa_exception_fp_ieee_inexact 0
		.amdhsa_exception_int_div_zero 0
	.end_amdhsa_kernel
	.section	.text._ZN2at6native12_GLOBAL__N_131weight_norm_bwd_last_dim_kernelIN3c104HalfEfEEvPT_S6_PKS5_S8_S8_PKT0_ii,"axG",@progbits,_ZN2at6native12_GLOBAL__N_131weight_norm_bwd_last_dim_kernelIN3c104HalfEfEEvPT_S6_PKS5_S8_S8_PKT0_ii,comdat
.Lfunc_end15:
	.size	_ZN2at6native12_GLOBAL__N_131weight_norm_bwd_last_dim_kernelIN3c104HalfEfEEvPT_S6_PKS5_S8_S8_PKT0_ii, .Lfunc_end15-_ZN2at6native12_GLOBAL__N_131weight_norm_bwd_last_dim_kernelIN3c104HalfEfEEvPT_S6_PKS5_S8_S8_PKT0_ii
                                        ; -- End function
	.section	.AMDGPU.csdata,"",@progbits
; Kernel info:
; codeLenInByte = 904
; NumSgprs: 27
; NumVgprs: 14
; NumAgprs: 0
; TotalNumVgprs: 14
; ScratchSize: 0
; MemoryBound: 0
; FloatMode: 240
; IeeeMode: 1
; LDSByteSize: 0 bytes/workgroup (compile time only)
; SGPRBlocks: 3
; VGPRBlocks: 1
; NumSGPRsForWavesPerEU: 27
; NumVGPRsForWavesPerEU: 14
; AccumOffset: 16
; Occupancy: 8
; WaveLimiterHint : 0
; COMPUTE_PGM_RSRC2:SCRATCH_EN: 0
; COMPUTE_PGM_RSRC2:USER_SGPR: 6
; COMPUTE_PGM_RSRC2:TRAP_HANDLER: 0
; COMPUTE_PGM_RSRC2:TGID_X_EN: 1
; COMPUTE_PGM_RSRC2:TGID_Y_EN: 0
; COMPUTE_PGM_RSRC2:TGID_Z_EN: 0
; COMPUTE_PGM_RSRC2:TIDIG_COMP_CNT: 1
; COMPUTE_PGM_RSRC3_GFX90A:ACCUM_OFFSET: 3
; COMPUTE_PGM_RSRC3_GFX90A:TG_SPLIT: 0
	.text
	.p2alignl 6, 3212836864
	.fill 256, 4, 3212836864
	.type	__hip_cuid_25751543797f45f0,@object ; @__hip_cuid_25751543797f45f0
	.section	.bss,"aw",@nobits
	.globl	__hip_cuid_25751543797f45f0
__hip_cuid_25751543797f45f0:
	.byte	0                               ; 0x0
	.size	__hip_cuid_25751543797f45f0, 1

	.ident	"AMD clang version 19.0.0git (https://github.com/RadeonOpenCompute/llvm-project roc-6.4.0 25133 c7fe45cf4b819c5991fe208aaa96edf142730f1d)"
	.section	".note.GNU-stack","",@progbits
	.addrsig
	.addrsig_sym __hip_cuid_25751543797f45f0
	.amdgpu_metadata
---
amdhsa.kernels:
  - .agpr_count:     0
    .args:
      - .actual_access:  write_only
        .address_space:  global
        .offset:         0
        .size:           8
        .value_kind:     global_buffer
      - .actual_access:  write_only
        .address_space:  global
        .offset:         8
        .size:           8
        .value_kind:     global_buffer
      - .actual_access:  read_only
        .address_space:  global
        .offset:         16
        .size:           8
        .value_kind:     global_buffer
      - .actual_access:  read_only
        .address_space:  global
        .offset:         24
        .size:           8
        .value_kind:     global_buffer
      - .offset:         32
        .size:           4
        .value_kind:     by_value
      - .offset:         40
        .size:           4
        .value_kind:     hidden_block_count_x
      - .offset:         44
        .size:           4
        .value_kind:     hidden_block_count_y
      - .offset:         48
        .size:           4
        .value_kind:     hidden_block_count_z
      - .offset:         52
        .size:           2
        .value_kind:     hidden_group_size_x
      - .offset:         54
        .size:           2
        .value_kind:     hidden_group_size_y
      - .offset:         56
        .size:           2
        .value_kind:     hidden_group_size_z
      - .offset:         58
        .size:           2
        .value_kind:     hidden_remainder_x
      - .offset:         60
        .size:           2
        .value_kind:     hidden_remainder_y
      - .offset:         62
        .size:           2
        .value_kind:     hidden_remainder_z
      - .offset:         80
        .size:           8
        .value_kind:     hidden_global_offset_x
      - .offset:         88
        .size:           8
        .value_kind:     hidden_global_offset_y
      - .offset:         96
        .size:           8
        .value_kind:     hidden_global_offset_z
      - .offset:         104
        .size:           2
        .value_kind:     hidden_grid_dims
      - .offset:         160
        .size:           4
        .value_kind:     hidden_dynamic_lds_size
    .group_segment_fixed_size: 0
    .kernarg_segment_align: 8
    .kernarg_segment_size: 296
    .language:       OpenCL C
    .language_version:
      - 2
      - 0
    .max_flat_workgroup_size: 1024
    .name:           _ZN2at6native12_GLOBAL__N_132weight_norm_fwd_first_dim_kernelIddEEvPT_PT0_PKS3_S8_i
    .private_segment_fixed_size: 0
    .sgpr_count:     25
    .sgpr_spill_count: 0
    .symbol:         _ZN2at6native12_GLOBAL__N_132weight_norm_fwd_first_dim_kernelIddEEvPT_PT0_PKS3_S8_i.kd
    .uniform_work_group_size: 1
    .uses_dynamic_stack: false
    .vgpr_count:     14
    .vgpr_spill_count: 0
    .wavefront_size: 64
  - .agpr_count:     0
    .args:
      - .actual_access:  write_only
        .address_space:  global
        .offset:         0
        .size:           8
        .value_kind:     global_buffer
      - .actual_access:  write_only
        .address_space:  global
        .offset:         8
        .size:           8
        .value_kind:     global_buffer
      - .actual_access:  read_only
        .address_space:  global
        .offset:         16
        .size:           8
        .value_kind:     global_buffer
      - .actual_access:  read_only
        .address_space:  global
        .offset:         24
        .size:           8
        .value_kind:     global_buffer
      - .offset:         32
        .size:           4
        .value_kind:     by_value
      - .offset:         40
        .size:           4
        .value_kind:     hidden_block_count_x
      - .offset:         44
        .size:           4
        .value_kind:     hidden_block_count_y
      - .offset:         48
        .size:           4
        .value_kind:     hidden_block_count_z
      - .offset:         52
        .size:           2
        .value_kind:     hidden_group_size_x
      - .offset:         54
        .size:           2
        .value_kind:     hidden_group_size_y
      - .offset:         56
        .size:           2
        .value_kind:     hidden_group_size_z
      - .offset:         58
        .size:           2
        .value_kind:     hidden_remainder_x
      - .offset:         60
        .size:           2
        .value_kind:     hidden_remainder_y
      - .offset:         62
        .size:           2
        .value_kind:     hidden_remainder_z
      - .offset:         80
        .size:           8
        .value_kind:     hidden_global_offset_x
      - .offset:         88
        .size:           8
        .value_kind:     hidden_global_offset_y
      - .offset:         96
        .size:           8
        .value_kind:     hidden_global_offset_z
      - .offset:         104
        .size:           2
        .value_kind:     hidden_grid_dims
      - .offset:         160
        .size:           4
        .value_kind:     hidden_dynamic_lds_size
    .group_segment_fixed_size: 0
    .kernarg_segment_align: 8
    .kernarg_segment_size: 296
    .language:       OpenCL C
    .language_version:
      - 2
      - 0
    .max_flat_workgroup_size: 1024
    .name:           _ZN2at6native12_GLOBAL__N_132weight_norm_fwd_first_dim_kernelIffEEvPT_PT0_PKS3_S8_i
    .private_segment_fixed_size: 0
    .sgpr_count:     26
    .sgpr_spill_count: 0
    .symbol:         _ZN2at6native12_GLOBAL__N_132weight_norm_fwd_first_dim_kernelIffEEvPT_PT0_PKS3_S8_i.kd
    .uniform_work_group_size: 1
    .uses_dynamic_stack: false
    .vgpr_count:     14
    .vgpr_spill_count: 0
    .wavefront_size: 64
  - .agpr_count:     0
    .args:
      - .actual_access:  write_only
        .address_space:  global
        .offset:         0
        .size:           8
        .value_kind:     global_buffer
      - .actual_access:  write_only
        .address_space:  global
        .offset:         8
        .size:           8
        .value_kind:     global_buffer
      - .actual_access:  read_only
        .address_space:  global
        .offset:         16
        .size:           8
        .value_kind:     global_buffer
      - .actual_access:  read_only
        .address_space:  global
        .offset:         24
        .size:           8
        .value_kind:     global_buffer
      - .offset:         32
        .size:           4
        .value_kind:     by_value
      - .offset:         40
        .size:           4
        .value_kind:     hidden_block_count_x
      - .offset:         44
        .size:           4
        .value_kind:     hidden_block_count_y
      - .offset:         48
        .size:           4
        .value_kind:     hidden_block_count_z
      - .offset:         52
        .size:           2
        .value_kind:     hidden_group_size_x
      - .offset:         54
        .size:           2
        .value_kind:     hidden_group_size_y
      - .offset:         56
        .size:           2
        .value_kind:     hidden_group_size_z
      - .offset:         58
        .size:           2
        .value_kind:     hidden_remainder_x
      - .offset:         60
        .size:           2
        .value_kind:     hidden_remainder_y
      - .offset:         62
        .size:           2
        .value_kind:     hidden_remainder_z
      - .offset:         80
        .size:           8
        .value_kind:     hidden_global_offset_x
      - .offset:         88
        .size:           8
        .value_kind:     hidden_global_offset_y
      - .offset:         96
        .size:           8
        .value_kind:     hidden_global_offset_z
      - .offset:         104
        .size:           2
        .value_kind:     hidden_grid_dims
      - .offset:         160
        .size:           4
        .value_kind:     hidden_dynamic_lds_size
    .group_segment_fixed_size: 0
    .kernarg_segment_align: 8
    .kernarg_segment_size: 296
    .language:       OpenCL C
    .language_version:
      - 2
      - 0
    .max_flat_workgroup_size: 1024
    .name:           _ZN2at6native12_GLOBAL__N_132weight_norm_fwd_first_dim_kernelIN3c108BFloat16EfEEvPT_PT0_PKS5_SA_i
    .private_segment_fixed_size: 0
    .sgpr_count:     26
    .sgpr_spill_count: 0
    .symbol:         _ZN2at6native12_GLOBAL__N_132weight_norm_fwd_first_dim_kernelIN3c108BFloat16EfEEvPT_PT0_PKS5_SA_i.kd
    .uniform_work_group_size: 1
    .uses_dynamic_stack: false
    .vgpr_count:     26
    .vgpr_spill_count: 0
    .wavefront_size: 64
  - .agpr_count:     0
    .args:
      - .actual_access:  write_only
        .address_space:  global
        .offset:         0
        .size:           8
        .value_kind:     global_buffer
      - .actual_access:  write_only
        .address_space:  global
        .offset:         8
        .size:           8
        .value_kind:     global_buffer
      - .actual_access:  read_only
        .address_space:  global
        .offset:         16
        .size:           8
        .value_kind:     global_buffer
      - .actual_access:  read_only
        .address_space:  global
        .offset:         24
        .size:           8
        .value_kind:     global_buffer
      - .offset:         32
        .size:           4
        .value_kind:     by_value
      - .offset:         40
        .size:           4
        .value_kind:     hidden_block_count_x
      - .offset:         44
        .size:           4
        .value_kind:     hidden_block_count_y
      - .offset:         48
        .size:           4
        .value_kind:     hidden_block_count_z
      - .offset:         52
        .size:           2
        .value_kind:     hidden_group_size_x
      - .offset:         54
        .size:           2
        .value_kind:     hidden_group_size_y
      - .offset:         56
        .size:           2
        .value_kind:     hidden_group_size_z
      - .offset:         58
        .size:           2
        .value_kind:     hidden_remainder_x
      - .offset:         60
        .size:           2
        .value_kind:     hidden_remainder_y
      - .offset:         62
        .size:           2
        .value_kind:     hidden_remainder_z
      - .offset:         80
        .size:           8
        .value_kind:     hidden_global_offset_x
      - .offset:         88
        .size:           8
        .value_kind:     hidden_global_offset_y
      - .offset:         96
        .size:           8
        .value_kind:     hidden_global_offset_z
      - .offset:         104
        .size:           2
        .value_kind:     hidden_grid_dims
      - .offset:         160
        .size:           4
        .value_kind:     hidden_dynamic_lds_size
    .group_segment_fixed_size: 0
    .kernarg_segment_align: 8
    .kernarg_segment_size: 296
    .language:       OpenCL C
    .language_version:
      - 2
      - 0
    .max_flat_workgroup_size: 1024
    .name:           _ZN2at6native12_GLOBAL__N_132weight_norm_fwd_first_dim_kernelIN3c104HalfEfEEvPT_PT0_PKS5_SA_i
    .private_segment_fixed_size: 0
    .sgpr_count:     26
    .sgpr_spill_count: 0
    .symbol:         _ZN2at6native12_GLOBAL__N_132weight_norm_fwd_first_dim_kernelIN3c104HalfEfEEvPT_PT0_PKS5_SA_i.kd
    .uniform_work_group_size: 1
    .uses_dynamic_stack: false
    .vgpr_count:     24
    .vgpr_spill_count: 0
    .wavefront_size: 64
  - .agpr_count:     0
    .args:
      - .actual_access:  write_only
        .address_space:  global
        .offset:         0
        .size:           8
        .value_kind:     global_buffer
      - .actual_access:  write_only
        .address_space:  global
        .offset:         8
        .size:           8
        .value_kind:     global_buffer
      - .actual_access:  read_only
        .address_space:  global
        .offset:         16
        .size:           8
        .value_kind:     global_buffer
      - .actual_access:  read_only
        .address_space:  global
        .offset:         24
        .size:           8
        .value_kind:     global_buffer
      - .offset:         32
        .size:           4
        .value_kind:     by_value
      - .offset:         36
        .size:           4
        .value_kind:     by_value
      - .offset:         40
        .size:           4
        .value_kind:     hidden_block_count_x
      - .offset:         44
        .size:           4
        .value_kind:     hidden_block_count_y
      - .offset:         48
        .size:           4
        .value_kind:     hidden_block_count_z
      - .offset:         52
        .size:           2
        .value_kind:     hidden_group_size_x
      - .offset:         54
        .size:           2
        .value_kind:     hidden_group_size_y
      - .offset:         56
        .size:           2
        .value_kind:     hidden_group_size_z
      - .offset:         58
        .size:           2
        .value_kind:     hidden_remainder_x
      - .offset:         60
        .size:           2
        .value_kind:     hidden_remainder_y
      - .offset:         62
        .size:           2
        .value_kind:     hidden_remainder_z
      - .offset:         80
        .size:           8
        .value_kind:     hidden_global_offset_x
      - .offset:         88
        .size:           8
        .value_kind:     hidden_global_offset_y
      - .offset:         96
        .size:           8
        .value_kind:     hidden_global_offset_z
      - .offset:         104
        .size:           2
        .value_kind:     hidden_grid_dims
      - .offset:         160
        .size:           4
        .value_kind:     hidden_dynamic_lds_size
    .group_segment_fixed_size: 0
    .kernarg_segment_align: 8
    .kernarg_segment_size: 296
    .language:       OpenCL C
    .language_version:
      - 2
      - 0
    .max_flat_workgroup_size: 1024
    .name:           _ZN2at6native12_GLOBAL__N_131weight_norm_fwd_last_dim_kernelIddEEvPT_PT0_PKS3_S8_ii
    .private_segment_fixed_size: 0
    .sgpr_count:     24
    .sgpr_spill_count: 0
    .symbol:         _ZN2at6native12_GLOBAL__N_131weight_norm_fwd_last_dim_kernelIddEEvPT_PT0_PKS3_S8_ii.kd
    .uniform_work_group_size: 1
    .uses_dynamic_stack: false
    .vgpr_count:     16
    .vgpr_spill_count: 0
    .wavefront_size: 64
  - .agpr_count:     0
    .args:
      - .actual_access:  write_only
        .address_space:  global
        .offset:         0
        .size:           8
        .value_kind:     global_buffer
      - .actual_access:  write_only
        .address_space:  global
        .offset:         8
        .size:           8
        .value_kind:     global_buffer
      - .actual_access:  read_only
        .address_space:  global
        .offset:         16
        .size:           8
        .value_kind:     global_buffer
      - .actual_access:  read_only
        .address_space:  global
        .offset:         24
        .size:           8
        .value_kind:     global_buffer
      - .offset:         32
        .size:           4
        .value_kind:     by_value
      - .offset:         36
        .size:           4
        .value_kind:     by_value
      - .offset:         40
        .size:           4
        .value_kind:     hidden_block_count_x
      - .offset:         44
        .size:           4
        .value_kind:     hidden_block_count_y
      - .offset:         48
        .size:           4
        .value_kind:     hidden_block_count_z
      - .offset:         52
        .size:           2
        .value_kind:     hidden_group_size_x
      - .offset:         54
        .size:           2
        .value_kind:     hidden_group_size_y
      - .offset:         56
        .size:           2
        .value_kind:     hidden_group_size_z
      - .offset:         58
        .size:           2
        .value_kind:     hidden_remainder_x
      - .offset:         60
        .size:           2
        .value_kind:     hidden_remainder_y
      - .offset:         62
        .size:           2
        .value_kind:     hidden_remainder_z
      - .offset:         80
        .size:           8
        .value_kind:     hidden_global_offset_x
      - .offset:         88
        .size:           8
        .value_kind:     hidden_global_offset_y
      - .offset:         96
        .size:           8
        .value_kind:     hidden_global_offset_z
      - .offset:         104
        .size:           2
        .value_kind:     hidden_grid_dims
      - .offset:         160
        .size:           4
        .value_kind:     hidden_dynamic_lds_size
    .group_segment_fixed_size: 0
    .kernarg_segment_align: 8
    .kernarg_segment_size: 296
    .language:       OpenCL C
    .language_version:
      - 2
      - 0
    .max_flat_workgroup_size: 1024
    .name:           _ZN2at6native12_GLOBAL__N_131weight_norm_fwd_last_dim_kernelIffEEvPT_PT0_PKS3_S8_ii
    .private_segment_fixed_size: 0
    .sgpr_count:     24
    .sgpr_spill_count: 0
    .symbol:         _ZN2at6native12_GLOBAL__N_131weight_norm_fwd_last_dim_kernelIffEEvPT_PT0_PKS3_S8_ii.kd
    .uniform_work_group_size: 1
    .uses_dynamic_stack: false
    .vgpr_count:     13
    .vgpr_spill_count: 0
    .wavefront_size: 64
  - .agpr_count:     0
    .args:
      - .actual_access:  write_only
        .address_space:  global
        .offset:         0
        .size:           8
        .value_kind:     global_buffer
      - .actual_access:  write_only
        .address_space:  global
        .offset:         8
        .size:           8
        .value_kind:     global_buffer
      - .actual_access:  read_only
        .address_space:  global
        .offset:         16
        .size:           8
        .value_kind:     global_buffer
      - .actual_access:  read_only
        .address_space:  global
        .offset:         24
        .size:           8
        .value_kind:     global_buffer
      - .offset:         32
        .size:           4
        .value_kind:     by_value
      - .offset:         36
        .size:           4
        .value_kind:     by_value
      - .offset:         40
        .size:           4
        .value_kind:     hidden_block_count_x
      - .offset:         44
        .size:           4
        .value_kind:     hidden_block_count_y
      - .offset:         48
        .size:           4
        .value_kind:     hidden_block_count_z
      - .offset:         52
        .size:           2
        .value_kind:     hidden_group_size_x
      - .offset:         54
        .size:           2
        .value_kind:     hidden_group_size_y
      - .offset:         56
        .size:           2
        .value_kind:     hidden_group_size_z
      - .offset:         58
        .size:           2
        .value_kind:     hidden_remainder_x
      - .offset:         60
        .size:           2
        .value_kind:     hidden_remainder_y
      - .offset:         62
        .size:           2
        .value_kind:     hidden_remainder_z
      - .offset:         80
        .size:           8
        .value_kind:     hidden_global_offset_x
      - .offset:         88
        .size:           8
        .value_kind:     hidden_global_offset_y
      - .offset:         96
        .size:           8
        .value_kind:     hidden_global_offset_z
      - .offset:         104
        .size:           2
        .value_kind:     hidden_grid_dims
      - .offset:         160
        .size:           4
        .value_kind:     hidden_dynamic_lds_size
    .group_segment_fixed_size: 0
    .kernarg_segment_align: 8
    .kernarg_segment_size: 296
    .language:       OpenCL C
    .language_version:
      - 2
      - 0
    .max_flat_workgroup_size: 1024
    .name:           _ZN2at6native12_GLOBAL__N_131weight_norm_fwd_last_dim_kernelIN3c108BFloat16EfEEvPT_PT0_PKS5_SA_ii
    .private_segment_fixed_size: 0
    .sgpr_count:     24
    .sgpr_spill_count: 0
    .symbol:         _ZN2at6native12_GLOBAL__N_131weight_norm_fwd_last_dim_kernelIN3c108BFloat16EfEEvPT_PT0_PKS5_SA_ii.kd
    .uniform_work_group_size: 1
    .uses_dynamic_stack: false
    .vgpr_count:     13
    .vgpr_spill_count: 0
    .wavefront_size: 64
  - .agpr_count:     0
    .args:
      - .actual_access:  write_only
        .address_space:  global
        .offset:         0
        .size:           8
        .value_kind:     global_buffer
      - .actual_access:  write_only
        .address_space:  global
        .offset:         8
        .size:           8
        .value_kind:     global_buffer
      - .actual_access:  read_only
        .address_space:  global
        .offset:         16
        .size:           8
        .value_kind:     global_buffer
      - .actual_access:  read_only
        .address_space:  global
        .offset:         24
        .size:           8
        .value_kind:     global_buffer
      - .offset:         32
        .size:           4
        .value_kind:     by_value
      - .offset:         36
        .size:           4
        .value_kind:     by_value
      - .offset:         40
        .size:           4
        .value_kind:     hidden_block_count_x
      - .offset:         44
        .size:           4
        .value_kind:     hidden_block_count_y
      - .offset:         48
        .size:           4
        .value_kind:     hidden_block_count_z
      - .offset:         52
        .size:           2
        .value_kind:     hidden_group_size_x
      - .offset:         54
        .size:           2
        .value_kind:     hidden_group_size_y
      - .offset:         56
        .size:           2
        .value_kind:     hidden_group_size_z
      - .offset:         58
        .size:           2
        .value_kind:     hidden_remainder_x
      - .offset:         60
        .size:           2
        .value_kind:     hidden_remainder_y
      - .offset:         62
        .size:           2
        .value_kind:     hidden_remainder_z
      - .offset:         80
        .size:           8
        .value_kind:     hidden_global_offset_x
      - .offset:         88
        .size:           8
        .value_kind:     hidden_global_offset_y
      - .offset:         96
        .size:           8
        .value_kind:     hidden_global_offset_z
      - .offset:         104
        .size:           2
        .value_kind:     hidden_grid_dims
      - .offset:         160
        .size:           4
        .value_kind:     hidden_dynamic_lds_size
    .group_segment_fixed_size: 0
    .kernarg_segment_align: 8
    .kernarg_segment_size: 296
    .language:       OpenCL C
    .language_version:
      - 2
      - 0
    .max_flat_workgroup_size: 1024
    .name:           _ZN2at6native12_GLOBAL__N_131weight_norm_fwd_last_dim_kernelIN3c104HalfEfEEvPT_PT0_PKS5_SA_ii
    .private_segment_fixed_size: 0
    .sgpr_count:     24
    .sgpr_spill_count: 0
    .symbol:         _ZN2at6native12_GLOBAL__N_131weight_norm_fwd_last_dim_kernelIN3c104HalfEfEEvPT_PT0_PKS5_SA_ii.kd
    .uniform_work_group_size: 1
    .uses_dynamic_stack: false
    .vgpr_count:     13
    .vgpr_spill_count: 0
    .wavefront_size: 64
  - .agpr_count:     0
    .args:
      - .actual_access:  write_only
        .address_space:  global
        .offset:         0
        .size:           8
        .value_kind:     global_buffer
      - .actual_access:  write_only
        .address_space:  global
        .offset:         8
        .size:           8
        .value_kind:     global_buffer
      - .actual_access:  read_only
        .address_space:  global
        .offset:         16
        .size:           8
        .value_kind:     global_buffer
      - .actual_access:  read_only
        .address_space:  global
        .offset:         24
        .size:           8
        .value_kind:     global_buffer
      - .actual_access:  read_only
        .address_space:  global
        .offset:         32
        .size:           8
        .value_kind:     global_buffer
      - .actual_access:  read_only
        .address_space:  global
        .offset:         40
        .size:           8
        .value_kind:     global_buffer
      - .offset:         48
        .size:           4
        .value_kind:     by_value
      - .offset:         56
        .size:           4
        .value_kind:     hidden_block_count_x
      - .offset:         60
        .size:           4
        .value_kind:     hidden_block_count_y
      - .offset:         64
        .size:           4
        .value_kind:     hidden_block_count_z
      - .offset:         68
        .size:           2
        .value_kind:     hidden_group_size_x
      - .offset:         70
        .size:           2
        .value_kind:     hidden_group_size_y
      - .offset:         72
        .size:           2
        .value_kind:     hidden_group_size_z
      - .offset:         74
        .size:           2
        .value_kind:     hidden_remainder_x
      - .offset:         76
        .size:           2
        .value_kind:     hidden_remainder_y
      - .offset:         78
        .size:           2
        .value_kind:     hidden_remainder_z
      - .offset:         96
        .size:           8
        .value_kind:     hidden_global_offset_x
      - .offset:         104
        .size:           8
        .value_kind:     hidden_global_offset_y
      - .offset:         112
        .size:           8
        .value_kind:     hidden_global_offset_z
      - .offset:         120
        .size:           2
        .value_kind:     hidden_grid_dims
      - .offset:         176
        .size:           4
        .value_kind:     hidden_dynamic_lds_size
    .group_segment_fixed_size: 0
    .kernarg_segment_align: 8
    .kernarg_segment_size: 312
    .language:       OpenCL C
    .language_version:
      - 2
      - 0
    .max_flat_workgroup_size: 1024
    .name:           _ZN2at6native12_GLOBAL__N_132weight_norm_bwd_first_dim_kernelIddEEvPT_S4_PKS3_S6_S6_PKT0_i
    .private_segment_fixed_size: 0
    .sgpr_count:     29
    .sgpr_spill_count: 0
    .symbol:         _ZN2at6native12_GLOBAL__N_132weight_norm_bwd_first_dim_kernelIddEEvPT_S4_PKS3_S6_S6_PKT0_i.kd
    .uniform_work_group_size: 1
    .uses_dynamic_stack: false
    .vgpr_count:     20
    .vgpr_spill_count: 0
    .wavefront_size: 64
  - .agpr_count:     0
    .args:
      - .actual_access:  write_only
        .address_space:  global
        .offset:         0
        .size:           8
        .value_kind:     global_buffer
      - .actual_access:  write_only
        .address_space:  global
        .offset:         8
        .size:           8
        .value_kind:     global_buffer
      - .actual_access:  read_only
        .address_space:  global
        .offset:         16
        .size:           8
        .value_kind:     global_buffer
      - .actual_access:  read_only
        .address_space:  global
        .offset:         24
        .size:           8
        .value_kind:     global_buffer
      - .actual_access:  read_only
        .address_space:  global
        .offset:         32
        .size:           8
        .value_kind:     global_buffer
      - .actual_access:  read_only
        .address_space:  global
        .offset:         40
        .size:           8
        .value_kind:     global_buffer
      - .offset:         48
        .size:           4
        .value_kind:     by_value
      - .offset:         56
        .size:           4
        .value_kind:     hidden_block_count_x
      - .offset:         60
        .size:           4
        .value_kind:     hidden_block_count_y
      - .offset:         64
        .size:           4
        .value_kind:     hidden_block_count_z
      - .offset:         68
        .size:           2
        .value_kind:     hidden_group_size_x
      - .offset:         70
        .size:           2
        .value_kind:     hidden_group_size_y
      - .offset:         72
        .size:           2
        .value_kind:     hidden_group_size_z
      - .offset:         74
        .size:           2
        .value_kind:     hidden_remainder_x
      - .offset:         76
        .size:           2
        .value_kind:     hidden_remainder_y
      - .offset:         78
        .size:           2
        .value_kind:     hidden_remainder_z
      - .offset:         96
        .size:           8
        .value_kind:     hidden_global_offset_x
      - .offset:         104
        .size:           8
        .value_kind:     hidden_global_offset_y
      - .offset:         112
        .size:           8
        .value_kind:     hidden_global_offset_z
      - .offset:         120
        .size:           2
        .value_kind:     hidden_grid_dims
      - .offset:         176
        .size:           4
        .value_kind:     hidden_dynamic_lds_size
    .group_segment_fixed_size: 0
    .kernarg_segment_align: 8
    .kernarg_segment_size: 312
    .language:       OpenCL C
    .language_version:
      - 2
      - 0
    .max_flat_workgroup_size: 1024
    .name:           _ZN2at6native12_GLOBAL__N_132weight_norm_bwd_first_dim_kernelIffEEvPT_S4_PKS3_S6_S6_PKT0_i
    .private_segment_fixed_size: 0
    .sgpr_count:     30
    .sgpr_spill_count: 0
    .symbol:         _ZN2at6native12_GLOBAL__N_132weight_norm_bwd_first_dim_kernelIffEEvPT_S4_PKS3_S6_S6_PKT0_i.kd
    .uniform_work_group_size: 1
    .uses_dynamic_stack: false
    .vgpr_count:     22
    .vgpr_spill_count: 0
    .wavefront_size: 64
  - .agpr_count:     0
    .args:
      - .actual_access:  write_only
        .address_space:  global
        .offset:         0
        .size:           8
        .value_kind:     global_buffer
      - .actual_access:  write_only
        .address_space:  global
        .offset:         8
        .size:           8
        .value_kind:     global_buffer
      - .actual_access:  read_only
        .address_space:  global
        .offset:         16
        .size:           8
        .value_kind:     global_buffer
      - .actual_access:  read_only
        .address_space:  global
        .offset:         24
        .size:           8
        .value_kind:     global_buffer
      - .actual_access:  read_only
        .address_space:  global
        .offset:         32
        .size:           8
        .value_kind:     global_buffer
      - .actual_access:  read_only
        .address_space:  global
        .offset:         40
        .size:           8
        .value_kind:     global_buffer
      - .offset:         48
        .size:           4
        .value_kind:     by_value
      - .offset:         56
        .size:           4
        .value_kind:     hidden_block_count_x
      - .offset:         60
        .size:           4
        .value_kind:     hidden_block_count_y
      - .offset:         64
        .size:           4
        .value_kind:     hidden_block_count_z
      - .offset:         68
        .size:           2
        .value_kind:     hidden_group_size_x
      - .offset:         70
        .size:           2
        .value_kind:     hidden_group_size_y
      - .offset:         72
        .size:           2
        .value_kind:     hidden_group_size_z
      - .offset:         74
        .size:           2
        .value_kind:     hidden_remainder_x
      - .offset:         76
        .size:           2
        .value_kind:     hidden_remainder_y
      - .offset:         78
        .size:           2
        .value_kind:     hidden_remainder_z
      - .offset:         96
        .size:           8
        .value_kind:     hidden_global_offset_x
      - .offset:         104
        .size:           8
        .value_kind:     hidden_global_offset_y
      - .offset:         112
        .size:           8
        .value_kind:     hidden_global_offset_z
      - .offset:         120
        .size:           2
        .value_kind:     hidden_grid_dims
      - .offset:         176
        .size:           4
        .value_kind:     hidden_dynamic_lds_size
    .group_segment_fixed_size: 0
    .kernarg_segment_align: 8
    .kernarg_segment_size: 312
    .language:       OpenCL C
    .language_version:
      - 2
      - 0
    .max_flat_workgroup_size: 1024
    .name:           _ZN2at6native12_GLOBAL__N_132weight_norm_bwd_first_dim_kernelIN3c108BFloat16EfEEvPT_S6_PKS5_S8_S8_PKT0_i
    .private_segment_fixed_size: 0
    .sgpr_count:     30
    .sgpr_spill_count: 0
    .symbol:         _ZN2at6native12_GLOBAL__N_132weight_norm_bwd_first_dim_kernelIN3c108BFloat16EfEEvPT_S6_PKS5_S8_S8_PKT0_i.kd
    .uniform_work_group_size: 1
    .uses_dynamic_stack: false
    .vgpr_count:     40
    .vgpr_spill_count: 0
    .wavefront_size: 64
  - .agpr_count:     0
    .args:
      - .actual_access:  write_only
        .address_space:  global
        .offset:         0
        .size:           8
        .value_kind:     global_buffer
      - .actual_access:  write_only
        .address_space:  global
        .offset:         8
        .size:           8
        .value_kind:     global_buffer
      - .actual_access:  read_only
        .address_space:  global
        .offset:         16
        .size:           8
        .value_kind:     global_buffer
      - .actual_access:  read_only
        .address_space:  global
        .offset:         24
        .size:           8
        .value_kind:     global_buffer
      - .actual_access:  read_only
        .address_space:  global
        .offset:         32
        .size:           8
        .value_kind:     global_buffer
      - .actual_access:  read_only
        .address_space:  global
        .offset:         40
        .size:           8
        .value_kind:     global_buffer
      - .offset:         48
        .size:           4
        .value_kind:     by_value
      - .offset:         56
        .size:           4
        .value_kind:     hidden_block_count_x
      - .offset:         60
        .size:           4
        .value_kind:     hidden_block_count_y
      - .offset:         64
        .size:           4
        .value_kind:     hidden_block_count_z
      - .offset:         68
        .size:           2
        .value_kind:     hidden_group_size_x
      - .offset:         70
        .size:           2
        .value_kind:     hidden_group_size_y
      - .offset:         72
        .size:           2
        .value_kind:     hidden_group_size_z
      - .offset:         74
        .size:           2
        .value_kind:     hidden_remainder_x
      - .offset:         76
        .size:           2
        .value_kind:     hidden_remainder_y
      - .offset:         78
        .size:           2
        .value_kind:     hidden_remainder_z
      - .offset:         96
        .size:           8
        .value_kind:     hidden_global_offset_x
      - .offset:         104
        .size:           8
        .value_kind:     hidden_global_offset_y
      - .offset:         112
        .size:           8
        .value_kind:     hidden_global_offset_z
      - .offset:         120
        .size:           2
        .value_kind:     hidden_grid_dims
      - .offset:         176
        .size:           4
        .value_kind:     hidden_dynamic_lds_size
    .group_segment_fixed_size: 0
    .kernarg_segment_align: 8
    .kernarg_segment_size: 312
    .language:       OpenCL C
    .language_version:
      - 2
      - 0
    .max_flat_workgroup_size: 1024
    .name:           _ZN2at6native12_GLOBAL__N_132weight_norm_bwd_first_dim_kernelIN3c104HalfEfEEvPT_S6_PKS5_S8_S8_PKT0_i
    .private_segment_fixed_size: 0
    .sgpr_count:     30
    .sgpr_spill_count: 0
    .symbol:         _ZN2at6native12_GLOBAL__N_132weight_norm_bwd_first_dim_kernelIN3c104HalfEfEEvPT_S6_PKS5_S8_S8_PKT0_i.kd
    .uniform_work_group_size: 1
    .uses_dynamic_stack: false
    .vgpr_count:     38
    .vgpr_spill_count: 0
    .wavefront_size: 64
  - .agpr_count:     0
    .args:
      - .actual_access:  write_only
        .address_space:  global
        .offset:         0
        .size:           8
        .value_kind:     global_buffer
      - .actual_access:  write_only
        .address_space:  global
        .offset:         8
        .size:           8
        .value_kind:     global_buffer
      - .actual_access:  read_only
        .address_space:  global
        .offset:         16
        .size:           8
        .value_kind:     global_buffer
      - .actual_access:  read_only
        .address_space:  global
        .offset:         24
        .size:           8
        .value_kind:     global_buffer
      - .actual_access:  read_only
        .address_space:  global
        .offset:         32
        .size:           8
        .value_kind:     global_buffer
      - .actual_access:  read_only
        .address_space:  global
        .offset:         40
        .size:           8
        .value_kind:     global_buffer
      - .offset:         48
        .size:           4
        .value_kind:     by_value
      - .offset:         52
        .size:           4
        .value_kind:     by_value
      - .offset:         56
        .size:           4
        .value_kind:     hidden_block_count_x
      - .offset:         60
        .size:           4
        .value_kind:     hidden_block_count_y
      - .offset:         64
        .size:           4
        .value_kind:     hidden_block_count_z
      - .offset:         68
        .size:           2
        .value_kind:     hidden_group_size_x
      - .offset:         70
        .size:           2
        .value_kind:     hidden_group_size_y
      - .offset:         72
        .size:           2
        .value_kind:     hidden_group_size_z
      - .offset:         74
        .size:           2
        .value_kind:     hidden_remainder_x
      - .offset:         76
        .size:           2
        .value_kind:     hidden_remainder_y
      - .offset:         78
        .size:           2
        .value_kind:     hidden_remainder_z
      - .offset:         96
        .size:           8
        .value_kind:     hidden_global_offset_x
      - .offset:         104
        .size:           8
        .value_kind:     hidden_global_offset_y
      - .offset:         112
        .size:           8
        .value_kind:     hidden_global_offset_z
      - .offset:         120
        .size:           2
        .value_kind:     hidden_grid_dims
      - .offset:         176
        .size:           4
        .value_kind:     hidden_dynamic_lds_size
    .group_segment_fixed_size: 0
    .kernarg_segment_align: 8
    .kernarg_segment_size: 312
    .language:       OpenCL C
    .language_version:
      - 2
      - 0
    .max_flat_workgroup_size: 1024
    .name:           _ZN2at6native12_GLOBAL__N_131weight_norm_bwd_last_dim_kernelIddEEvPT_S4_PKS3_S6_S6_PKT0_ii
    .private_segment_fixed_size: 0
    .sgpr_count:     27
    .sgpr_spill_count: 0
    .symbol:         _ZN2at6native12_GLOBAL__N_131weight_norm_bwd_last_dim_kernelIddEEvPT_S4_PKS3_S6_S6_PKT0_ii.kd
    .uniform_work_group_size: 1
    .uses_dynamic_stack: false
    .vgpr_count:     20
    .vgpr_spill_count: 0
    .wavefront_size: 64
  - .agpr_count:     0
    .args:
      - .actual_access:  write_only
        .address_space:  global
        .offset:         0
        .size:           8
        .value_kind:     global_buffer
      - .actual_access:  write_only
        .address_space:  global
        .offset:         8
        .size:           8
        .value_kind:     global_buffer
      - .actual_access:  read_only
        .address_space:  global
        .offset:         16
        .size:           8
        .value_kind:     global_buffer
      - .actual_access:  read_only
        .address_space:  global
        .offset:         24
        .size:           8
        .value_kind:     global_buffer
      - .actual_access:  read_only
        .address_space:  global
        .offset:         32
        .size:           8
        .value_kind:     global_buffer
      - .actual_access:  read_only
        .address_space:  global
        .offset:         40
        .size:           8
        .value_kind:     global_buffer
      - .offset:         48
        .size:           4
        .value_kind:     by_value
      - .offset:         52
        .size:           4
        .value_kind:     by_value
      - .offset:         56
        .size:           4
        .value_kind:     hidden_block_count_x
      - .offset:         60
        .size:           4
        .value_kind:     hidden_block_count_y
      - .offset:         64
        .size:           4
        .value_kind:     hidden_block_count_z
      - .offset:         68
        .size:           2
        .value_kind:     hidden_group_size_x
      - .offset:         70
        .size:           2
        .value_kind:     hidden_group_size_y
      - .offset:         72
        .size:           2
        .value_kind:     hidden_group_size_z
      - .offset:         74
        .size:           2
        .value_kind:     hidden_remainder_x
      - .offset:         76
        .size:           2
        .value_kind:     hidden_remainder_y
      - .offset:         78
        .size:           2
        .value_kind:     hidden_remainder_z
      - .offset:         96
        .size:           8
        .value_kind:     hidden_global_offset_x
      - .offset:         104
        .size:           8
        .value_kind:     hidden_global_offset_y
      - .offset:         112
        .size:           8
        .value_kind:     hidden_global_offset_z
      - .offset:         120
        .size:           2
        .value_kind:     hidden_grid_dims
      - .offset:         176
        .size:           4
        .value_kind:     hidden_dynamic_lds_size
    .group_segment_fixed_size: 0
    .kernarg_segment_align: 8
    .kernarg_segment_size: 312
    .language:       OpenCL C
    .language_version:
      - 2
      - 0
    .max_flat_workgroup_size: 1024
    .name:           _ZN2at6native12_GLOBAL__N_131weight_norm_bwd_last_dim_kernelIffEEvPT_S4_PKS3_S6_S6_PKT0_ii
    .private_segment_fixed_size: 0
    .sgpr_count:     27
    .sgpr_spill_count: 0
    .symbol:         _ZN2at6native12_GLOBAL__N_131weight_norm_bwd_last_dim_kernelIffEEvPT_S4_PKS3_S6_S6_PKT0_ii.kd
    .uniform_work_group_size: 1
    .uses_dynamic_stack: false
    .vgpr_count:     14
    .vgpr_spill_count: 0
    .wavefront_size: 64
  - .agpr_count:     0
    .args:
      - .actual_access:  write_only
        .address_space:  global
        .offset:         0
        .size:           8
        .value_kind:     global_buffer
      - .actual_access:  write_only
        .address_space:  global
        .offset:         8
        .size:           8
        .value_kind:     global_buffer
      - .actual_access:  read_only
        .address_space:  global
        .offset:         16
        .size:           8
        .value_kind:     global_buffer
      - .actual_access:  read_only
        .address_space:  global
        .offset:         24
        .size:           8
        .value_kind:     global_buffer
      - .actual_access:  read_only
        .address_space:  global
        .offset:         32
        .size:           8
        .value_kind:     global_buffer
      - .actual_access:  read_only
        .address_space:  global
        .offset:         40
        .size:           8
        .value_kind:     global_buffer
      - .offset:         48
        .size:           4
        .value_kind:     by_value
      - .offset:         52
        .size:           4
        .value_kind:     by_value
      - .offset:         56
        .size:           4
        .value_kind:     hidden_block_count_x
      - .offset:         60
        .size:           4
        .value_kind:     hidden_block_count_y
      - .offset:         64
        .size:           4
        .value_kind:     hidden_block_count_z
      - .offset:         68
        .size:           2
        .value_kind:     hidden_group_size_x
      - .offset:         70
        .size:           2
        .value_kind:     hidden_group_size_y
      - .offset:         72
        .size:           2
        .value_kind:     hidden_group_size_z
      - .offset:         74
        .size:           2
        .value_kind:     hidden_remainder_x
      - .offset:         76
        .size:           2
        .value_kind:     hidden_remainder_y
      - .offset:         78
        .size:           2
        .value_kind:     hidden_remainder_z
      - .offset:         96
        .size:           8
        .value_kind:     hidden_global_offset_x
      - .offset:         104
        .size:           8
        .value_kind:     hidden_global_offset_y
      - .offset:         112
        .size:           8
        .value_kind:     hidden_global_offset_z
      - .offset:         120
        .size:           2
        .value_kind:     hidden_grid_dims
      - .offset:         176
        .size:           4
        .value_kind:     hidden_dynamic_lds_size
    .group_segment_fixed_size: 0
    .kernarg_segment_align: 8
    .kernarg_segment_size: 312
    .language:       OpenCL C
    .language_version:
      - 2
      - 0
    .max_flat_workgroup_size: 1024
    .name:           _ZN2at6native12_GLOBAL__N_131weight_norm_bwd_last_dim_kernelIN3c108BFloat16EfEEvPT_S6_PKS5_S8_S8_PKT0_ii
    .private_segment_fixed_size: 0
    .sgpr_count:     27
    .sgpr_spill_count: 0
    .symbol:         _ZN2at6native12_GLOBAL__N_131weight_norm_bwd_last_dim_kernelIN3c108BFloat16EfEEvPT_S6_PKS5_S8_S8_PKT0_ii.kd
    .uniform_work_group_size: 1
    .uses_dynamic_stack: false
    .vgpr_count:     18
    .vgpr_spill_count: 0
    .wavefront_size: 64
  - .agpr_count:     0
    .args:
      - .actual_access:  write_only
        .address_space:  global
        .offset:         0
        .size:           8
        .value_kind:     global_buffer
      - .actual_access:  write_only
        .address_space:  global
        .offset:         8
        .size:           8
        .value_kind:     global_buffer
      - .actual_access:  read_only
        .address_space:  global
        .offset:         16
        .size:           8
        .value_kind:     global_buffer
      - .actual_access:  read_only
        .address_space:  global
        .offset:         24
        .size:           8
        .value_kind:     global_buffer
      - .actual_access:  read_only
        .address_space:  global
        .offset:         32
        .size:           8
        .value_kind:     global_buffer
      - .actual_access:  read_only
        .address_space:  global
        .offset:         40
        .size:           8
        .value_kind:     global_buffer
      - .offset:         48
        .size:           4
        .value_kind:     by_value
      - .offset:         52
        .size:           4
        .value_kind:     by_value
      - .offset:         56
        .size:           4
        .value_kind:     hidden_block_count_x
      - .offset:         60
        .size:           4
        .value_kind:     hidden_block_count_y
      - .offset:         64
        .size:           4
        .value_kind:     hidden_block_count_z
      - .offset:         68
        .size:           2
        .value_kind:     hidden_group_size_x
      - .offset:         70
        .size:           2
        .value_kind:     hidden_group_size_y
      - .offset:         72
        .size:           2
        .value_kind:     hidden_group_size_z
      - .offset:         74
        .size:           2
        .value_kind:     hidden_remainder_x
      - .offset:         76
        .size:           2
        .value_kind:     hidden_remainder_y
      - .offset:         78
        .size:           2
        .value_kind:     hidden_remainder_z
      - .offset:         96
        .size:           8
        .value_kind:     hidden_global_offset_x
      - .offset:         104
        .size:           8
        .value_kind:     hidden_global_offset_y
      - .offset:         112
        .size:           8
        .value_kind:     hidden_global_offset_z
      - .offset:         120
        .size:           2
        .value_kind:     hidden_grid_dims
      - .offset:         176
        .size:           4
        .value_kind:     hidden_dynamic_lds_size
    .group_segment_fixed_size: 0
    .kernarg_segment_align: 8
    .kernarg_segment_size: 312
    .language:       OpenCL C
    .language_version:
      - 2
      - 0
    .max_flat_workgroup_size: 1024
    .name:           _ZN2at6native12_GLOBAL__N_131weight_norm_bwd_last_dim_kernelIN3c104HalfEfEEvPT_S6_PKS5_S8_S8_PKT0_ii
    .private_segment_fixed_size: 0
    .sgpr_count:     27
    .sgpr_spill_count: 0
    .symbol:         _ZN2at6native12_GLOBAL__N_131weight_norm_bwd_last_dim_kernelIN3c104HalfEfEEvPT_S6_PKS5_S8_S8_PKT0_ii.kd
    .uniform_work_group_size: 1
    .uses_dynamic_stack: false
    .vgpr_count:     14
    .vgpr_spill_count: 0
    .wavefront_size: 64
amdhsa.target:   amdgcn-amd-amdhsa--gfx90a
amdhsa.version:
  - 1
  - 2
...

	.end_amdgpu_metadata
